;; amdgpu-corpus repo=ROCm/rocFFT kind=compiled arch=gfx906 opt=O3
	.text
	.amdgcn_target "amdgcn-amd-amdhsa--gfx906"
	.amdhsa_code_object_version 6
	.protected	bluestein_single_fwd_len85_dim1_dp_op_CI_CI ; -- Begin function bluestein_single_fwd_len85_dim1_dp_op_CI_CI
	.globl	bluestein_single_fwd_len85_dim1_dp_op_CI_CI
	.p2align	8
	.type	bluestein_single_fwd_len85_dim1_dp_op_CI_CI,@function
bluestein_single_fwd_len85_dim1_dp_op_CI_CI: ; @bluestein_single_fwd_len85_dim1_dp_op_CI_CI
; %bb.0:
	s_mov_b64 s[62:63], s[2:3]
	v_mul_u32_u24_e32 v1, 0xf10, v0
	s_mov_b64 s[60:61], s[0:1]
	s_load_dwordx4 s[0:3], s[4:5], 0x28
	v_lshrrev_b32_e32 v1, 16, v1
	s_add_u32 s60, s60, s7
	v_mad_u64_u32 v[120:121], s[6:7], s6, 15, v[1:2]
	v_mov_b32_e32 v121, 0
	s_addc_u32 s61, s61, 0
	s_waitcnt lgkmcnt(0)
	v_cmp_gt_u64_e32 vcc, s[0:1], v[120:121]
	s_and_saveexec_b64 s[0:1], vcc
	s_cbranch_execz .LBB0_15
; %bb.1:
	s_mov_b32 s0, 0x88888889
	v_mul_hi_u32 v2, v120, s0
	s_load_dwordx2 s[6:7], s[4:5], 0x0
	s_load_dwordx2 s[12:13], s[4:5], 0x38
	v_mul_lo_u16_e32 v1, 17, v1
	v_sub_u16_e32 v255, v0, v1
	v_lshrrev_b32_e32 v2, 3, v2
	v_mul_lo_u32 v2, v2, 15
	v_cmp_gt_u16_e32 vcc, 5, v255
	v_lshlrev_b32_e32 v185, 4, v255
	v_sub_u32_e32 v0, v120, v2
	v_mul_u32_u24_e32 v0, 0x55, v0
	buffer_store_dword v0, off, s[60:63], 0 ; 4-byte Folded Spill
	v_lshlrev_b32_e32 v0, 4, v0
	buffer_store_dword v0, off, s[60:63], 0 offset:4 ; 4-byte Folded Spill
	s_and_saveexec_b64 s[14:15], vcc
	s_cbranch_execz .LBB0_3
; %bb.2:
	s_load_dwordx2 s[0:1], s[4:5], 0x18
	v_or_b32_e32 v58, 40, v255
	v_mov_b32_e32 v60, 0xa0
	v_or_b32_e32 v122, 0x50, v255
	s_waitcnt lgkmcnt(0)
	s_load_dwordx4 s[8:11], s[0:1], 0x0
	s_waitcnt lgkmcnt(0)
	v_mad_u64_u32 v[0:1], s[0:1], s10, v120, 0
	v_mad_u64_u32 v[2:3], s[0:1], s8, v255, 0
	s_mul_i32 s10, s9, 0xa0
	v_mad_u64_u32 v[4:5], s[0:1], s11, v120, v[1:2]
	v_mad_u64_u32 v[5:6], s[0:1], s9, v255, v[3:4]
	v_mov_b32_e32 v1, v4
	v_lshlrev_b64 v[0:1], 4, v[0:1]
	v_mov_b32_e32 v3, v5
	v_mov_b32_e32 v6, s3
	v_lshlrev_b64 v[2:3], 4, v[2:3]
	v_add_co_u32_e64 v28, s[0:1], s2, v0
	v_addc_co_u32_e64 v29, s[0:1], v6, v1, s[0:1]
	v_add_co_u32_e64 v16, s[0:1], v28, v2
	v_addc_co_u32_e64 v17, s[0:1], v29, v3, s[0:1]
	s_mul_i32 s0, s9, 0x50
	s_mul_hi_u32 s3, s8, 0x50
	s_add_i32 s3, s3, s0
	s_mul_i32 s2, s8, 0x50
	v_mov_b32_e32 v0, s3
	v_add_co_u32_e64 v18, s[0:1], s2, v16
	v_addc_co_u32_e64 v19, s[0:1], v17, v0, s[0:1]
	global_load_dwordx4 v[4:7], v[16:17], off
	global_load_dwordx4 v[0:3], v[18:19], off
	global_load_dwordx4 v[12:15], v185, s[6:7]
	global_load_dwordx4 v[8:11], v185, s[6:7] offset:80
	v_mov_b32_e32 v16, s3
	v_add_co_u32_e64 v34, s[0:1], s2, v18
	v_addc_co_u32_e64 v35, s[0:1], v19, v16, s[0:1]
	v_add_co_u32_e64 v36, s[0:1], s2, v34
	v_addc_co_u32_e64 v37, s[0:1], v35, v16, s[0:1]
	global_load_dwordx4 v[16:19], v[34:35], off
	global_load_dwordx4 v[20:23], v[36:37], off
	global_load_dwordx4 v[24:27], v185, s[6:7] offset:160
	global_load_dwordx4 v[30:33], v185, s[6:7] offset:240
	v_mov_b32_e32 v34, s3
	v_add_co_u32_e64 v54, s[0:1], s2, v36
	v_addc_co_u32_e64 v55, s[0:1], v37, v34, s[0:1]
	v_mad_u64_u32 v[56:57], s[0:1], s8, v58, 0
	v_mov_b32_e32 v59, s3
	v_mov_b32_e32 v61, s3
	v_mad_u64_u32 v[57:58], s[0:1], s9, v58, v[57:58]
	v_mov_b32_e32 v62, s3
	v_mov_b32_e32 v84, s3
	v_lshlrev_b64 v[56:57], 4, v[56:57]
	v_mov_b32_e32 v96, s3
	v_add_co_u32_e64 v70, s[0:1], v28, v56
	v_addc_co_u32_e64 v71, s[0:1], v29, v57, s[0:1]
	v_add_co_u32_e64 v58, s[0:1], s2, v54
	v_addc_co_u32_e64 v59, s[0:1], v55, v59, s[0:1]
	;; [unrolled: 2-line block ×4, first 2 shown]
	v_mad_u64_u32 v[82:83], s[0:1], s8, v60, v[74:75]
	v_mov_b32_e32 v100, s3
	v_mov_b32_e32 v104, s3
	v_add_u32_e32 v83, s10, v83
	v_add_co_u32_e64 v94, s[0:1], s2, v82
	v_addc_co_u32_e64 v95, s[0:1], v83, v84, s[0:1]
	v_add_co_u32_e64 v98, s[0:1], s2, v94
	v_addc_co_u32_e64 v99, s[0:1], v95, v96, s[0:1]
	;; [unrolled: 2-line block ×4, first 2 shown]
	v_mov_b32_e32 v116, s3
	v_add_co_u32_e64 v118, s[0:1], s2, v114
	v_addc_co_u32_e64 v119, s[0:1], v115, v116, s[0:1]
	v_mad_u64_u32 v[133:134], s[0:1], s8, v122, 0
	global_load_dwordx4 v[34:37], v[54:55], off
	global_load_dwordx4 v[38:41], v185, s[6:7] offset:320
	global_load_dwordx4 v[42:45], v185, s[6:7] offset:400
	;; [unrolled: 1-line block ×4, first 2 shown]
	v_mov_b32_e32 v121, s3
	global_load_dwordx4 v[54:57], v[58:59], off
	s_nop 0
	global_load_dwordx4 v[58:61], v[72:73], off
	global_load_dwordx4 v[62:65], v[70:71], off
	;; [unrolled: 1-line block ×3, first 2 shown]
	s_nop 0
	global_load_dwordx4 v[70:73], v[82:83], off
	global_load_dwordx4 v[74:77], v185, s[6:7] offset:640
	global_load_dwordx4 v[78:81], v185, s[6:7] offset:720
	s_nop 0
	global_load_dwordx4 v[82:85], v[94:95], off
	global_load_dwordx4 v[86:89], v185, s[6:7] offset:800
	global_load_dwordx4 v[90:93], v185, s[6:7] offset:880
	s_nop 0
	global_load_dwordx4 v[94:97], v[98:99], off
	s_nop 0
	global_load_dwordx4 v[98:101], v[102:103], off
	;; [unrolled: 2-line block ×3, first 2 shown]
	global_load_dwordx4 v[106:109], v185, s[6:7] offset:960
	global_load_dwordx4 v[110:113], v185, s[6:7] offset:1040
	s_nop 0
	global_load_dwordx4 v[114:117], v[118:119], off
	v_add_co_u32_e64 v118, s[0:1], s2, v118
	v_addc_co_u32_e64 v119, s[0:1], v119, v121, s[0:1]
	v_mov_b32_e32 v121, v134
	v_mad_u64_u32 v[134:135], s[0:1], s9, v122, v[121:122]
	global_load_dwordx4 v[121:124], v[118:119], off
	global_load_dwordx4 v[125:128], v185, s[6:7] offset:1120
	global_load_dwordx4 v[129:132], v185, s[6:7] offset:1200
	v_lshlrev_b64 v[118:119], 4, v[133:134]
	v_add_co_u32_e64 v28, s[0:1], v28, v118
	v_addc_co_u32_e64 v29, s[0:1], v29, v119, s[0:1]
	global_load_dwordx4 v[133:136], v[28:29], off
	global_load_dwordx4 v[137:140], v185, s[6:7] offset:1280
	s_waitcnt vmcnt(31)
	v_mul_f64 v[28:29], v[6:7], v[14:15]
	v_mul_f64 v[14:15], v[4:5], v[14:15]
	v_fma_f64 v[4:5], v[4:5], v[12:13], v[28:29]
	v_fma_f64 v[6:7], v[6:7], v[12:13], -v[14:15]
	s_waitcnt vmcnt(30)
	v_mul_f64 v[12:13], v[2:3], v[10:11]
	s_waitcnt vmcnt(26)
	v_mul_f64 v[28:29], v[22:23], v[32:33]
	v_mul_f64 v[10:11], v[0:1], v[10:11]
	;; [unrolled: 1-line block ×5, first 2 shown]
	v_fma_f64 v[0:1], v[0:1], v[8:9], v[12:13]
	v_fma_f64 v[12:13], v[20:21], v[30:31], v[28:29]
	buffer_load_dword v21, off, s[60:63], 0 offset:4 ; 4-byte Folded Reload
	v_fma_f64 v[2:3], v[2:3], v[8:9], -v[10:11]
	v_fma_f64 v[8:9], v[16:17], v[24:25], v[14:15]
	v_fma_f64 v[10:11], v[18:19], v[24:25], -v[26:27]
	v_fma_f64 v[14:15], v[22:23], v[30:31], -v[32:33]
	s_waitcnt vmcnt(25)
	v_mul_f64 v[118:119], v[36:37], v[40:41]
	v_mul_f64 v[40:41], v[34:35], v[40:41]
	s_waitcnt vmcnt(20)
	v_mul_f64 v[22:23], v[58:59], v[48:49]
	v_fma_f64 v[16:17], v[34:35], v[38:39], v[118:119]
	v_fma_f64 v[18:19], v[36:37], v[38:39], -v[40:41]
	s_waitcnt vmcnt(11)
	v_mul_f64 v[24:25], v[96:97], v[92:93]
	v_mul_f64 v[26:27], v[94:95], v[92:93]
	s_waitcnt vmcnt(8)
	v_mul_f64 v[28:29], v[100:101], v[108:109]
	v_mul_f64 v[30:31], v[98:99], v[108:109]
	s_waitcnt vmcnt(0)
	v_lshl_add_u32 v20, v255, 4, v21
	ds_write_b128 v20, v[4:7]
	v_mul_f64 v[4:5], v[56:57], v[44:45]
	v_mul_f64 v[6:7], v[54:55], v[44:45]
	v_add_u32_e32 v32, v21, v185
	v_mul_f64 v[20:21], v[60:61], v[48:49]
	ds_write_b128 v32, v[0:3] offset:80
	ds_write_b128 v32, v[8:11] offset:160
	;; [unrolled: 1-line block ×4, first 2 shown]
	v_mul_f64 v[8:9], v[68:69], v[52:53]
	v_mul_f64 v[10:11], v[66:67], v[52:53]
	;; [unrolled: 1-line block ×4, first 2 shown]
	v_fma_f64 v[0:1], v[54:55], v[42:43], v[4:5]
	v_fma_f64 v[2:3], v[56:57], v[42:43], -v[6:7]
	v_fma_f64 v[4:5], v[58:59], v[46:47], v[20:21]
	v_fma_f64 v[6:7], v[60:61], v[46:47], -v[22:23]
	;; [unrolled: 2-line block ×4, first 2 shown]
	v_mul_f64 v[16:17], v[72:73], v[80:81]
	v_mul_f64 v[18:19], v[70:71], v[80:81]
	;; [unrolled: 1-line block ×4, first 2 shown]
	ds_write_b128 v32, v[0:3] offset:400
	ds_write_b128 v32, v[4:7] offset:480
	;; [unrolled: 1-line block ×4, first 2 shown]
	v_mul_f64 v[8:9], v[104:105], v[112:113]
	v_mul_f64 v[10:11], v[102:103], v[112:113]
	;; [unrolled: 1-line block ×4, first 2 shown]
	v_fma_f64 v[0:1], v[94:95], v[90:91], v[24:25]
	v_fma_f64 v[2:3], v[96:97], v[90:91], -v[26:27]
	v_mul_f64 v[24:25], v[123:124], v[131:132]
	v_mul_f64 v[26:27], v[121:122], v[131:132]
	v_fma_f64 v[4:5], v[98:99], v[106:107], v[28:29]
	v_fma_f64 v[6:7], v[100:101], v[106:107], -v[30:31]
	v_mul_f64 v[28:29], v[135:136], v[139:140]
	v_mul_f64 v[30:31], v[133:134], v[139:140]
	v_fma_f64 v[16:17], v[70:71], v[78:79], v[16:17]
	v_fma_f64 v[18:19], v[72:73], v[78:79], -v[18:19]
	v_fma_f64 v[20:21], v[82:83], v[86:87], v[20:21]
	v_fma_f64 v[22:23], v[84:85], v[86:87], -v[22:23]
	;; [unrolled: 2-line block ×6, first 2 shown]
	ds_write_b128 v32, v[16:19] offset:720
	ds_write_b128 v32, v[20:23] offset:800
	;; [unrolled: 1-line block ×8, first 2 shown]
.LBB0_3:
	s_or_b64 exec, exec, s[14:15]
	s_load_dwordx2 s[0:1], s[4:5], 0x20
	s_load_dwordx2 s[8:9], s[4:5], 0x8
	s_waitcnt vmcnt(0) lgkmcnt(0)
	s_barrier
	s_waitcnt lgkmcnt(0)
                                        ; implicit-def: $vgpr46_vgpr47
                                        ; implicit-def: $vgpr42_vgpr43
                                        ; implicit-def: $vgpr38_vgpr39
                                        ; implicit-def: $vgpr106_vgpr107
                                        ; implicit-def: $vgpr102_vgpr103
                                        ; implicit-def: $vgpr98_vgpr99
                                        ; implicit-def: $vgpr94_vgpr95
                                        ; implicit-def: $vgpr90_vgpr91
                                        ; implicit-def: $vgpr30_vgpr31
                                        ; implicit-def: $vgpr48_vgpr49
                                        ; implicit-def: $vgpr52_vgpr53
                                        ; implicit-def: $vgpr56_vgpr57
                                        ; implicit-def: $vgpr60_vgpr61
                                        ; implicit-def: $vgpr64_vgpr65
                                        ; implicit-def: $vgpr68_vgpr69
                                        ; implicit-def: $vgpr72_vgpr73
                                        ; implicit-def: $vgpr76_vgpr77
	s_and_saveexec_b64 s[2:3], vcc
	s_cbranch_execz .LBB0_5
; %bb.4:
	buffer_load_dword v0, off, s[60:63], 0  ; 4-byte Folded Reload
	s_waitcnt vmcnt(0)
	v_lshl_add_u32 v0, v0, 4, v185
	ds_read_b128 v[28:31], v0
	ds_read_b128 v[88:91], v0 offset:80
	ds_read_b128 v[92:95], v0 offset:160
	;; [unrolled: 1-line block ×16, first 2 shown]
.LBB0_5:
	s_or_b64 exec, exec, s[2:3]
	s_waitcnt lgkmcnt(0)
	v_add_f64 v[2:3], v[90:91], -v[78:79]
	s_mov_b32 s38, 0x5d8e7cdc
	s_mov_b32 s39, 0xbfd71e95
	v_add_f64 v[0:1], v[88:89], -v[76:77]
	v_add_f64 v[118:119], v[94:95], -v[74:75]
	s_mov_b32 s46, 0x2a9d6da3
	s_mov_b32 s36, 0x7c9e640b
	;; [unrolled: 1-line block ×3, first 2 shown]
	v_mul_f64 v[4:5], v[2:3], s[38:39]
	s_mov_b32 s47, 0xbfe58eea
	s_mov_b32 s37, 0xbfeca52d
	;; [unrolled: 1-line block ×3, first 2 shown]
	v_mul_f64 v[6:7], v[0:1], s[38:39]
	v_mul_f64 v[8:9], v[2:3], s[46:47]
	;; [unrolled: 1-line block ×4, first 2 shown]
	buffer_store_dword v4, off, s[60:63], 0 offset:8 ; 4-byte Folded Spill
	s_nop 0
	buffer_store_dword v5, off, s[60:63], 0 offset:12 ; 4-byte Folded Spill
	v_mul_f64 v[14:15], v[0:1], s[36:37]
	v_mul_f64 v[16:17], v[2:3], s[40:41]
	;; [unrolled: 1-line block ×3, first 2 shown]
	v_add_f64 v[116:117], v[92:93], -v[72:73]
	v_mul_f64 v[121:122], v[118:119], s[46:47]
	buffer_store_dword v6, off, s[60:63], 0 offset:16 ; 4-byte Folded Spill
	s_nop 0
	buffer_store_dword v7, off, s[60:63], 0 offset:20 ; 4-byte Folded Spill
	buffer_store_dword v8, off, s[60:63], 0 offset:24 ; 4-byte Folded Spill
	s_nop 0
	buffer_store_dword v9, off, s[60:63], 0 offset:28 ; 4-byte Folded Spill
	;; [unrolled: 3-line block ×7, first 2 shown]
	v_mul_f64 v[125:126], v[116:117], s[46:47]
	buffer_store_dword v121, off, s[60:63], 0 offset:72 ; 4-byte Folded Spill
	s_nop 0
	buffer_store_dword v122, off, s[60:63], 0 offset:76 ; 4-byte Folded Spill
	buffer_store_dword v125, off, s[60:63], 0 offset:80 ; 4-byte Folded Spill
	s_nop 0
	buffer_store_dword v126, off, s[60:63], 0 offset:84 ; 4-byte Folded Spill
	v_add_f64 v[123:124], v[88:89], v[76:77]
	s_mov_b32 s2, 0x370991
	s_mov_b32 s3, 0x3fedd6d0
	v_add_f64 v[127:128], v[90:91], v[78:79]
	v_add_f64 v[133:134], v[92:93], v[72:73]
	s_mov_b32 s10, 0x75d4884
	s_mov_b32 s11, 0x3fe7a5f6
	v_add_f64 v[137:138], v[94:95], v[74:75]
	s_mov_b32 s14, 0x3259b75e
	s_mov_b32 s15, 0x3fb79ee6
	;; [unrolled: 1-line block ×14, first 2 shown]
	v_mul_f64 v[20:21], v[2:3], s[24:25]
	s_mov_b32 s18, 0xc61f0d01
	s_mov_b32 s30, 0x4363dd80
	s_mov_b32 s19, 0xbfd183b1
	s_mov_b32 s31, 0xbfe0d888
	s_mov_b32 s51, 0x3fe0d888
	s_mov_b32 s50, s30
	s_mov_b32 s16, 0x910ea3b9
	v_fma_f64 v[22:23], v[123:124], s[18:19], -v[20:21]
	s_mov_b32 s17, 0xbfeb34fa
	v_mul_f64 v[24:25], v[0:1], s[24:25]
	v_fma_f64 v[20:21], v[123:124], s[18:19], v[20:21]
	v_mul_f64 v[32:33], v[2:3], s[26:27]
	s_mov_b32 s49, 0x3feec746
	s_mov_b32 s48, s24
	v_mul_f64 v[80:81], v[0:1], s[26:27]
	v_add_f64 v[22:23], v[28:29], v[22:23]
	v_mul_f64 v[84:85], v[2:3], s[30:31]
	v_fma_f64 v[26:27], v[127:128], s[18:19], v[24:25]
	v_add_f64 v[20:21], v[28:29], v[20:21]
	v_fma_f64 v[24:25], v[127:128], s[18:19], -v[24:25]
	v_fma_f64 v[34:35], v[123:124], s[22:23], -v[32:33]
	v_fma_f64 v[32:33], v[123:124], s[22:23], v[32:33]
	v_fma_f64 v[82:83], v[127:128], s[22:23], v[80:81]
	v_fma_f64 v[80:81], v[127:128], s[22:23], -v[80:81]
	s_mov_b32 s29, 0x3feca52d
	s_mov_b32 s28, s36
	v_add_f64 v[26:27], v[30:31], v[26:27]
	v_add_f64 v[24:25], v[30:31], v[24:25]
	;; [unrolled: 1-line block ×4, first 2 shown]
	v_fma_f64 v[86:87], v[123:124], s[16:17], -v[84:85]
	v_add_f64 v[80:81], v[30:31], v[80:81]
	v_mul_f64 v[108:109], v[0:1], s[30:31]
	v_fma_f64 v[84:85], v[123:124], s[16:17], v[84:85]
	v_fma_f64 v[4:5], v[123:124], s[2:3], v[4:5]
	v_mul_f64 v[2:3], v[2:3], s[34:35]
	s_mov_b32 s43, 0x3fd71e95
	s_mov_b32 s42, s38
	v_add_f64 v[86:87], v[28:29], v[86:87]
	v_mul_f64 v[0:1], v[0:1], s[34:35]
	v_fma_f64 v[6:7], v[127:128], s[2:3], -v[6:7]
	v_fma_f64 v[8:9], v[123:124], s[10:11], v[8:9]
	v_add_f64 v[4:5], v[28:29], v[4:5]
	v_fma_f64 v[10:11], v[127:128], s[10:11], -v[10:11]
	v_fma_f64 v[12:13], v[123:124], s[4:5], v[12:13]
	v_fma_f64 v[14:15], v[127:128], s[4:5], -v[14:15]
	v_fma_f64 v[16:17], v[123:124], s[14:15], v[16:17]
	;; [unrolled: 2-line block ×3, first 2 shown]
	v_add_f64 v[6:7], v[30:31], v[6:7]
	v_add_f64 v[8:9], v[28:29], v[8:9]
	;; [unrolled: 1-line block ×8, first 2 shown]
	v_fma_f64 v[121:122], v[137:138], s[10:11], -v[125:126]
	v_mul_f64 v[125:126], v[116:117], s[40:41]
	v_fma_f64 v[110:111], v[127:128], s[16:17], v[108:109]
	v_add_f64 v[84:85], v[28:29], v[84:85]
	v_fma_f64 v[108:109], v[127:128], s[16:17], -v[108:109]
	v_fma_f64 v[112:113], v[123:124], s[20:21], -v[2:3]
	v_fma_f64 v[2:3], v[123:124], s[20:21], v[2:3]
	v_fma_f64 v[114:115], v[127:128], s[20:21], v[0:1]
	v_add_f64 v[6:7], v[121:122], v[6:7]
	v_mul_f64 v[121:122], v[118:119], s[40:41]
	buffer_store_dword v121, off, s[60:63], 0 offset:88 ; 4-byte Folded Spill
	s_nop 0
	buffer_store_dword v122, off, s[60:63], 0 offset:92 ; 4-byte Folded Spill
	buffer_store_dword v125, off, s[60:63], 0 offset:96 ; 4-byte Folded Spill
	s_nop 0
	buffer_store_dword v126, off, s[60:63], 0 offset:100 ; 4-byte Folded Spill
	v_add_f64 v[108:109], v[30:31], v[108:109]
	v_add_f64 v[112:113], v[28:29], v[112:113]
	;; [unrolled: 1-line block ×4, first 2 shown]
	v_fma_f64 v[0:1], v[127:128], s[20:21], -v[0:1]
	v_add_f64 v[153:154], v[96:97], v[68:69]
	v_add_f64 v[155:156], v[98:99], v[70:71]
	s_mov_b32 s45, 0x3fc7851a
	s_mov_b32 s44, s34
	v_add_f64 v[82:83], v[30:31], v[82:83]
	v_add_f64 v[110:111], v[30:31], v[110:111]
	;; [unrolled: 1-line block ×5, first 2 shown]
	s_mov_b32 s53, 0x3fe9895b
	s_mov_b32 s52, s26
	v_add_f64 v[191:192], v[104:105], v[60:61]
	v_add_f64 v[193:194], v[106:107], v[62:63]
	;; [unrolled: 1-line block ×6, first 2 shown]
	v_add_f64 v[143:144], v[44:45], -v[48:49]
	v_add_f64 v[253:254], v[46:47], v[50:51]
	v_add_f64 v[147:148], v[46:47], -v[50:51]
	v_add_f64 v[251:252], v[44:45], v[48:49]
	v_mul_lo_u16_e32 v186, 17, v255
	v_mul_f64 v[135:136], v[143:144], s[42:43]
	v_mul_f64 v[141:142], v[143:144], s[30:31]
	v_fma_f64 v[121:122], v[133:134], s[14:15], v[121:122]
	v_add_f64 v[8:9], v[121:122], v[8:9]
	v_fma_f64 v[121:122], v[137:138], s[14:15], -v[125:126]
	v_mul_f64 v[125:126], v[116:117], s[26:27]
	v_add_f64 v[10:11], v[121:122], v[10:11]
	v_mul_f64 v[121:122], v[118:119], s[26:27]
	buffer_store_dword v121, off, s[60:63], 0 offset:104 ; 4-byte Folded Spill
	s_nop 0
	buffer_store_dword v122, off, s[60:63], 0 offset:108 ; 4-byte Folded Spill
	buffer_store_dword v125, off, s[60:63], 0 offset:112 ; 4-byte Folded Spill
	s_nop 0
	buffer_store_dword v126, off, s[60:63], 0 offset:116 ; 4-byte Folded Spill
	v_fma_f64 v[121:122], v[133:134], s[22:23], v[121:122]
	v_add_f64 v[12:13], v[121:122], v[12:13]
	v_fma_f64 v[121:122], v[137:138], s[22:23], -v[125:126]
	v_mul_f64 v[125:126], v[116:117], s[34:35]
	v_add_f64 v[14:15], v[121:122], v[14:15]
	v_mul_f64 v[121:122], v[118:119], s[34:35]
	buffer_store_dword v121, off, s[60:63], 0 offset:120 ; 4-byte Folded Spill
	s_nop 0
	buffer_store_dword v122, off, s[60:63], 0 offset:124 ; 4-byte Folded Spill
	buffer_store_dword v125, off, s[60:63], 0 offset:128 ; 4-byte Folded Spill
	s_nop 0
	buffer_store_dword v126, off, s[60:63], 0 offset:132 ; 4-byte Folded Spill
	v_fma_f64 v[121:122], v[133:134], s[20:21], v[121:122]
	v_add_f64 v[16:17], v[121:122], v[16:17]
	v_fma_f64 v[121:122], v[137:138], s[20:21], -v[125:126]
	v_add_f64 v[18:19], v[121:122], v[18:19]
	v_mul_f64 v[121:122], v[118:119], s[50:51]
	v_fma_f64 v[125:126], v[133:134], s[16:17], -v[121:122]
	v_fma_f64 v[121:122], v[133:134], s[16:17], v[121:122]
	v_add_f64 v[22:23], v[125:126], v[22:23]
	v_mul_f64 v[125:126], v[116:117], s[50:51]
	v_add_f64 v[20:21], v[121:122], v[20:21]
	v_fma_f64 v[121:122], v[137:138], s[16:17], -v[125:126]
	v_fma_f64 v[129:130], v[137:138], s[16:17], v[125:126]
	v_add_f64 v[24:25], v[121:122], v[24:25]
	v_mul_f64 v[121:122], v[118:119], s[48:49]
	v_add_f64 v[26:27], v[129:130], v[26:27]
	;; [unrolled: 5-line block ×3, first 2 shown]
	v_fma_f64 v[121:122], v[137:138], s[18:19], -v[125:126]
	v_fma_f64 v[129:130], v[137:138], s[18:19], v[125:126]
	v_add_f64 v[80:81], v[121:122], v[80:81]
	v_mul_f64 v[121:122], v[118:119], s[28:29]
	v_mul_f64 v[118:119], v[118:119], s[42:43]
	v_add_f64 v[82:83], v[129:130], v[82:83]
	v_fma_f64 v[125:126], v[133:134], s[4:5], -v[121:122]
	v_fma_f64 v[121:122], v[133:134], s[4:5], v[121:122]
	v_add_f64 v[86:87], v[125:126], v[86:87]
	v_mul_f64 v[125:126], v[116:117], s[28:29]
	v_add_f64 v[84:85], v[121:122], v[84:85]
	v_mul_f64 v[116:117], v[116:117], s[42:43]
	v_fma_f64 v[121:122], v[137:138], s[4:5], -v[125:126]
	v_fma_f64 v[129:130], v[137:138], s[4:5], v[125:126]
	v_add_f64 v[108:109], v[121:122], v[108:109]
	v_fma_f64 v[121:122], v[133:134], s[2:3], -v[118:119]
	v_fma_f64 v[118:119], v[133:134], s[2:3], v[118:119]
	v_add_f64 v[110:111], v[129:130], v[110:111]
	v_add_f64 v[112:113], v[121:122], v[112:113]
	v_fma_f64 v[121:122], v[137:138], s[2:3], v[116:117]
	v_add_f64 v[2:3], v[118:119], v[2:3]
	v_add_f64 v[118:119], v[98:99], -v[70:71]
	v_fma_f64 v[116:117], v[137:138], s[2:3], -v[116:117]
	v_add_f64 v[114:115], v[121:122], v[114:115]
	v_mul_f64 v[121:122], v[118:119], s[36:37]
	buffer_store_dword v121, off, s[60:63], 0 offset:136 ; 4-byte Folded Spill
	s_nop 0
	buffer_store_dword v122, off, s[60:63], 0 offset:140 ; 4-byte Folded Spill
	v_add_f64 v[0:1], v[116:117], v[0:1]
	v_add_f64 v[116:117], v[96:97], -v[68:69]
	v_mul_f64 v[165:166], v[118:119], s[26:27]
	v_mul_f64 v[169:170], v[118:119], s[44:45]
	;; [unrolled: 1-line block ×3, first 2 shown]
	s_waitcnt vmcnt(0)
	s_barrier
	v_mul_f64 v[163:164], v[116:117], s[36:37]
	v_mul_f64 v[167:168], v[116:117], s[26:27]
	;; [unrolled: 1-line block ×4, first 2 shown]
	s_mov_b32 s45, 0x3fe58eea
	s_mov_b32 s44, s46
	v_mul_f64 v[149:150], v[143:144], s[44:45]
	v_fma_f64 v[121:122], v[153:154], s[4:5], v[121:122]
	v_add_f64 v[4:5], v[121:122], v[4:5]
	v_fma_f64 v[121:122], v[155:156], s[4:5], -v[163:164]
	v_add_f64 v[6:7], v[121:122], v[6:7]
	v_fma_f64 v[121:122], v[153:154], s[22:23], v[165:166]
	v_add_f64 v[8:9], v[121:122], v[8:9]
	v_fma_f64 v[121:122], v[155:156], s[22:23], -v[167:168]
	v_add_f64 v[10:11], v[121:122], v[10:11]
	;; [unrolled: 4-line block ×4, first 2 shown]
	v_mul_f64 v[121:122], v[118:119], s[44:45]
	v_fma_f64 v[125:126], v[153:154], s[10:11], -v[121:122]
	v_fma_f64 v[121:122], v[153:154], s[10:11], v[121:122]
	v_add_f64 v[22:23], v[125:126], v[22:23]
	v_mul_f64 v[125:126], v[116:117], s[44:45]
	v_add_f64 v[20:21], v[121:122], v[20:21]
	v_fma_f64 v[121:122], v[155:156], s[10:11], -v[125:126]
	v_fma_f64 v[129:130], v[155:156], s[10:11], v[125:126]
	v_add_f64 v[24:25], v[121:122], v[24:25]
	v_mul_f64 v[121:122], v[118:119], s[38:39]
	v_add_f64 v[26:27], v[129:130], v[26:27]
	;; [unrolled: 5-line block ×3, first 2 shown]
	v_fma_f64 v[121:122], v[155:156], s[2:3], -v[125:126]
	v_fma_f64 v[129:130], v[155:156], s[2:3], v[125:126]
	v_add_f64 v[80:81], v[121:122], v[80:81]
	v_mul_f64 v[121:122], v[118:119], s[40:41]
	v_mul_f64 v[118:119], v[118:119], s[30:31]
	v_add_f64 v[82:83], v[129:130], v[82:83]
	v_fma_f64 v[125:126], v[153:154], s[14:15], -v[121:122]
	v_fma_f64 v[121:122], v[153:154], s[14:15], v[121:122]
	v_add_f64 v[86:87], v[125:126], v[86:87]
	v_mul_f64 v[125:126], v[116:117], s[40:41]
	v_add_f64 v[84:85], v[121:122], v[84:85]
	v_mul_f64 v[116:117], v[116:117], s[30:31]
	v_fma_f64 v[121:122], v[155:156], s[14:15], -v[125:126]
	v_fma_f64 v[129:130], v[155:156], s[14:15], v[125:126]
	v_add_f64 v[108:109], v[121:122], v[108:109]
	v_fma_f64 v[121:122], v[153:154], s[16:17], -v[118:119]
	v_fma_f64 v[118:119], v[153:154], s[16:17], v[118:119]
	v_add_f64 v[110:111], v[129:130], v[110:111]
	v_add_f64 v[112:113], v[121:122], v[112:113]
	v_fma_f64 v[121:122], v[155:156], s[16:17], v[116:117]
	v_add_f64 v[2:3], v[118:119], v[2:3]
	v_fma_f64 v[116:117], v[155:156], s[16:17], -v[116:117]
	v_add_f64 v[118:119], v[102:103], -v[66:67]
	v_add_f64 v[114:115], v[121:122], v[114:115]
	v_add_f64 v[0:1], v[116:117], v[0:1]
	v_add_f64 v[116:117], v[100:101], -v[64:65]
	v_mul_f64 v[179:180], v[118:119], s[40:41]
	v_mul_f64 v[151:152], v[118:119], s[34:35]
	;; [unrolled: 1-line block ×5, first 2 shown]
	v_fma_f64 v[121:122], v[171:172], s[14:15], v[179:180]
	v_mul_f64 v[189:190], v[116:117], s[34:35]
	v_mul_f64 v[195:196], v[116:117], s[48:49]
	;; [unrolled: 1-line block ×3, first 2 shown]
	v_add_f64 v[4:5], v[121:122], v[4:5]
	v_fma_f64 v[121:122], v[173:174], s[14:15], -v[181:182]
	v_add_f64 v[6:7], v[121:122], v[6:7]
	v_fma_f64 v[121:122], v[171:172], s[20:21], v[151:152]
	v_add_f64 v[8:9], v[121:122], v[8:9]
	v_fma_f64 v[121:122], v[173:174], s[20:21], -v[189:190]
	v_add_f64 v[10:11], v[121:122], v[10:11]
	v_fma_f64 v[121:122], v[171:172], s[18:19], v[187:188]
	;; [unrolled: 4-line block ×3, first 2 shown]
	v_add_f64 v[16:17], v[121:122], v[16:17]
	v_fma_f64 v[121:122], v[173:174], s[2:3], -v[205:206]
	v_add_f64 v[18:19], v[121:122], v[18:19]
	v_mul_f64 v[121:122], v[118:119], s[36:37]
	v_fma_f64 v[125:126], v[171:172], s[4:5], -v[121:122]
	v_fma_f64 v[121:122], v[171:172], s[4:5], v[121:122]
	v_add_f64 v[22:23], v[125:126], v[22:23]
	v_mul_f64 v[125:126], v[116:117], s[36:37]
	v_add_f64 v[20:21], v[121:122], v[20:21]
	v_fma_f64 v[121:122], v[173:174], s[4:5], -v[125:126]
	v_fma_f64 v[129:130], v[173:174], s[4:5], v[125:126]
	v_add_f64 v[24:25], v[121:122], v[24:25]
	v_mul_f64 v[121:122], v[118:119], s[30:31]
	v_add_f64 v[26:27], v[129:130], v[26:27]
	;; [unrolled: 5-line block ×3, first 2 shown]
	v_fma_f64 v[121:122], v[173:174], s[16:17], -v[125:126]
	v_fma_f64 v[129:130], v[173:174], s[16:17], v[125:126]
	v_add_f64 v[80:81], v[121:122], v[80:81]
	v_mul_f64 v[121:122], v[118:119], s[52:53]
	v_mul_f64 v[118:119], v[118:119], s[44:45]
	v_add_f64 v[82:83], v[129:130], v[82:83]
	v_fma_f64 v[125:126], v[171:172], s[22:23], -v[121:122]
	v_fma_f64 v[121:122], v[171:172], s[22:23], v[121:122]
	v_add_f64 v[86:87], v[125:126], v[86:87]
	v_mul_f64 v[125:126], v[116:117], s[52:53]
	v_add_f64 v[84:85], v[121:122], v[84:85]
	v_mul_f64 v[116:117], v[116:117], s[44:45]
	v_fma_f64 v[121:122], v[173:174], s[22:23], -v[125:126]
	v_fma_f64 v[129:130], v[173:174], s[22:23], v[125:126]
	v_add_f64 v[108:109], v[121:122], v[108:109]
	v_fma_f64 v[121:122], v[171:172], s[10:11], -v[118:119]
	v_fma_f64 v[118:119], v[171:172], s[10:11], v[118:119]
	v_add_f64 v[110:111], v[129:130], v[110:111]
	v_add_f64 v[112:113], v[121:122], v[112:113]
	v_fma_f64 v[121:122], v[173:174], s[10:11], v[116:117]
	v_add_f64 v[2:3], v[118:119], v[2:3]
	v_fma_f64 v[116:117], v[173:174], s[10:11], -v[116:117]
	v_add_f64 v[118:119], v[106:107], -v[62:63]
	v_add_f64 v[114:115], v[121:122], v[114:115]
	v_add_f64 v[0:1], v[116:117], v[0:1]
	v_add_f64 v[116:117], v[104:105], -v[60:61]
	v_mul_f64 v[197:198], v[118:119], s[24:25]
	v_mul_f64 v[203:204], v[118:119], s[50:51]
	;; [unrolled: 1-line block ×5, first 2 shown]
	v_fma_f64 v[121:122], v[191:192], s[18:19], v[197:198]
	v_mul_f64 v[209:210], v[116:117], s[50:51]
	v_mul_f64 v[215:216], v[116:117], s[44:45]
	;; [unrolled: 1-line block ×3, first 2 shown]
	s_mov_b32 s37, 0x3fefdd0d
	s_mov_b32 s36, s40
	v_add_f64 v[4:5], v[121:122], v[4:5]
	v_fma_f64 v[121:122], v[193:194], s[18:19], -v[199:200]
	v_add_f64 v[6:7], v[121:122], v[6:7]
	v_fma_f64 v[121:122], v[191:192], s[16:17], v[203:204]
	v_add_f64 v[8:9], v[121:122], v[8:9]
	v_fma_f64 v[121:122], v[193:194], s[16:17], -v[209:210]
	v_add_f64 v[10:11], v[121:122], v[10:11]
	v_fma_f64 v[121:122], v[191:192], s[10:11], v[207:208]
	;; [unrolled: 4-line block ×3, first 2 shown]
	v_add_f64 v[16:17], v[121:122], v[16:17]
	v_fma_f64 v[121:122], v[193:194], s[4:5], -v[225:226]
	v_add_f64 v[18:19], v[121:122], v[18:19]
	v_mul_f64 v[121:122], v[118:119], s[34:35]
	v_fma_f64 v[125:126], v[191:192], s[20:21], -v[121:122]
	v_fma_f64 v[121:122], v[191:192], s[20:21], v[121:122]
	v_add_f64 v[22:23], v[125:126], v[22:23]
	v_mul_f64 v[125:126], v[116:117], s[34:35]
	v_add_f64 v[20:21], v[121:122], v[20:21]
	v_fma_f64 v[121:122], v[193:194], s[20:21], -v[125:126]
	v_fma_f64 v[129:130], v[193:194], s[20:21], v[125:126]
	v_add_f64 v[24:25], v[121:122], v[24:25]
	v_mul_f64 v[121:122], v[118:119], s[36:37]
	v_add_f64 v[26:27], v[129:130], v[26:27]
	v_fma_f64 v[125:126], v[191:192], s[14:15], -v[121:122]
	v_fma_f64 v[121:122], v[191:192], s[14:15], v[121:122]
	v_add_f64 v[34:35], v[125:126], v[34:35]
	v_mul_f64 v[125:126], v[116:117], s[36:37]
	v_add_f64 v[32:33], v[121:122], v[32:33]
	v_fma_f64 v[121:122], v[193:194], s[14:15], -v[125:126]
	v_fma_f64 v[129:130], v[193:194], s[14:15], v[125:126]
	v_add_f64 v[80:81], v[121:122], v[80:81]
	v_mul_f64 v[121:122], v[118:119], s[38:39]
	v_mul_f64 v[118:119], v[118:119], s[26:27]
	v_add_f64 v[82:83], v[129:130], v[82:83]
	v_fma_f64 v[125:126], v[191:192], s[2:3], -v[121:122]
	v_fma_f64 v[121:122], v[191:192], s[2:3], v[121:122]
	v_add_f64 v[86:87], v[125:126], v[86:87]
	v_mul_f64 v[125:126], v[116:117], s[38:39]
	v_add_f64 v[84:85], v[121:122], v[84:85]
	v_mul_f64 v[116:117], v[116:117], s[26:27]
	v_fma_f64 v[121:122], v[193:194], s[2:3], -v[125:126]
	v_fma_f64 v[129:130], v[193:194], s[2:3], v[125:126]
	v_add_f64 v[108:109], v[121:122], v[108:109]
	v_fma_f64 v[121:122], v[191:192], s[22:23], -v[118:119]
	v_fma_f64 v[118:119], v[191:192], s[22:23], v[118:119]
	v_add_f64 v[110:111], v[129:130], v[110:111]
	v_add_f64 v[112:113], v[121:122], v[112:113]
	v_fma_f64 v[121:122], v[193:194], s[22:23], v[116:117]
	v_add_f64 v[2:3], v[118:119], v[2:3]
	v_fma_f64 v[116:117], v[193:194], s[22:23], -v[116:117]
	v_add_f64 v[118:119], v[38:39], -v[58:59]
	v_add_f64 v[114:115], v[121:122], v[114:115]
	v_add_f64 v[0:1], v[116:117], v[0:1]
	v_add_f64 v[116:117], v[36:37], -v[56:57]
	v_mul_f64 v[217:218], v[118:119], s[26:27]
	v_mul_f64 v[223:224], v[118:119], s[48:49]
	;; [unrolled: 1-line block ×5, first 2 shown]
	v_fma_f64 v[121:122], v[211:212], s[22:23], v[217:218]
	v_mul_f64 v[227:228], v[116:117], s[48:49]
	v_mul_f64 v[235:236], v[116:117], s[38:39]
	;; [unrolled: 1-line block ×3, first 2 shown]
	v_add_f64 v[4:5], v[121:122], v[4:5]
	v_fma_f64 v[121:122], v[213:214], s[22:23], -v[219:220]
	v_add_f64 v[6:7], v[121:122], v[6:7]
	v_fma_f64 v[121:122], v[211:212], s[18:19], v[223:224]
	v_add_f64 v[8:9], v[121:122], v[8:9]
	v_fma_f64 v[121:122], v[213:214], s[18:19], -v[227:228]
	v_add_f64 v[10:11], v[121:122], v[10:11]
	v_fma_f64 v[121:122], v[211:212], s[2:3], v[229:230]
	;; [unrolled: 4-line block ×3, first 2 shown]
	v_add_f64 v[16:17], v[121:122], v[16:17]
	v_fma_f64 v[121:122], v[213:214], s[16:17], -v[245:246]
	v_add_f64 v[18:19], v[121:122], v[18:19]
	v_mul_f64 v[121:122], v[118:119], s[36:37]
	v_fma_f64 v[125:126], v[211:212], s[14:15], -v[121:122]
	v_fma_f64 v[121:122], v[211:212], s[14:15], v[121:122]
	v_add_f64 v[22:23], v[125:126], v[22:23]
	v_mul_f64 v[125:126], v[116:117], s[36:37]
	v_add_f64 v[20:21], v[121:122], v[20:21]
	v_fma_f64 v[121:122], v[213:214], s[14:15], -v[125:126]
	v_fma_f64 v[129:130], v[213:214], s[14:15], v[125:126]
	v_add_f64 v[24:25], v[121:122], v[24:25]
	v_mul_f64 v[121:122], v[118:119], s[46:47]
	v_add_f64 v[26:27], v[129:130], v[26:27]
	;; [unrolled: 5-line block ×3, first 2 shown]
	v_fma_f64 v[121:122], v[213:214], s[10:11], -v[125:126]
	v_fma_f64 v[129:130], v[213:214], s[10:11], v[125:126]
	v_add_f64 v[80:81], v[121:122], v[80:81]
	v_mul_f64 v[121:122], v[118:119], s[34:35]
	v_mul_f64 v[118:119], v[118:119], s[28:29]
	v_add_f64 v[82:83], v[129:130], v[82:83]
	v_fma_f64 v[125:126], v[211:212], s[20:21], -v[121:122]
	v_fma_f64 v[121:122], v[211:212], s[20:21], v[121:122]
	v_add_f64 v[86:87], v[125:126], v[86:87]
	v_mul_f64 v[125:126], v[116:117], s[34:35]
	v_add_f64 v[84:85], v[121:122], v[84:85]
	v_mul_f64 v[116:117], v[116:117], s[28:29]
	v_fma_f64 v[121:122], v[213:214], s[20:21], -v[125:126]
	v_fma_f64 v[129:130], v[213:214], s[20:21], v[125:126]
	v_add_f64 v[125:126], v[42:43], -v[54:55]
	v_add_f64 v[108:109], v[121:122], v[108:109]
	v_fma_f64 v[121:122], v[211:212], s[4:5], -v[118:119]
	v_mul_f64 v[237:238], v[125:126], s[30:31]
	v_mul_f64 v[241:242], v[125:126], s[28:29]
	v_fma_f64 v[118:119], v[211:212], s[4:5], v[118:119]
	v_mul_f64 v[249:250], v[125:126], s[40:41]
	v_mul_f64 v[131:132], v[125:126], s[38:39]
	v_add_f64 v[110:111], v[129:130], v[110:111]
	v_add_f64 v[112:113], v[121:122], v[112:113]
	v_fma_f64 v[121:122], v[213:214], s[4:5], v[116:117]
	v_fma_f64 v[116:117], v[213:214], s[4:5], -v[116:117]
	v_add_f64 v[2:3], v[118:119], v[2:3]
	v_mul_f64 v[118:119], v[125:126], s[52:53]
	v_add_f64 v[114:115], v[121:122], v[114:115]
	v_add_f64 v[121:122], v[40:41], -v[52:53]
	v_add_f64 v[0:1], v[116:117], v[0:1]
	v_fma_f64 v[116:117], v[231:232], s[16:17], v[237:238]
	v_mul_f64 v[239:240], v[121:122], s[30:31]
	v_mul_f64 v[247:248], v[121:122], s[28:29]
	v_add_f64 v[4:5], v[116:117], v[4:5]
	v_mul_f64 v[129:130], v[121:122], s[52:53]
	v_fma_f64 v[116:117], v[233:234], s[16:17], -v[239:240]
	v_add_f64 v[6:7], v[116:117], v[6:7]
	v_fma_f64 v[116:117], v[231:232], s[4:5], v[241:242]
	v_add_f64 v[8:9], v[116:117], v[8:9]
	v_fma_f64 v[116:117], v[233:234], s[4:5], -v[247:248]
	v_add_f64 v[139:140], v[116:117], v[10:11]
	v_fma_f64 v[10:11], v[231:232], s[14:15], v[249:250]
	v_mul_f64 v[116:117], v[121:122], s[40:41]
	v_add_f64 v[145:146], v[10:11], v[12:13]
	v_fma_f64 v[12:13], v[231:232], s[22:23], v[118:119]
	v_fma_f64 v[10:11], v[233:234], s[14:15], -v[116:117]
	v_add_f64 v[12:13], v[12:13], v[16:17]
	v_fma_f64 v[16:17], v[231:232], s[2:3], -v[131:132]
	v_add_f64 v[10:11], v[10:11], v[14:15]
	;; [unrolled: 2-line block ×3, first 2 shown]
	v_mul_f64 v[22:23], v[121:122], s[38:39]
	v_add_f64 v[14:15], v[14:15], v[18:19]
	v_fma_f64 v[18:19], v[233:234], s[2:3], v[22:23]
	v_fma_f64 v[22:23], v[233:234], s[2:3], -v[22:23]
	v_add_f64 v[18:19], v[18:19], v[26:27]
	v_fma_f64 v[26:27], v[231:232], s[2:3], v[131:132]
	v_mul_f64 v[131:132], v[125:126], s[34:35]
	v_add_f64 v[22:23], v[22:23], v[24:25]
	v_add_f64 v[20:21], v[26:27], v[20:21]
	v_fma_f64 v[24:25], v[231:232], s[20:21], -v[131:132]
	v_add_f64 v[24:25], v[24:25], v[34:35]
	v_mul_f64 v[34:35], v[121:122], s[34:35]
	v_fma_f64 v[26:27], v[233:234], s[20:21], v[34:35]
	v_fma_f64 v[34:35], v[233:234], s[20:21], -v[34:35]
	v_add_f64 v[26:27], v[26:27], v[82:83]
	v_fma_f64 v[82:83], v[231:232], s[20:21], v[131:132]
	v_mul_f64 v[131:132], v[125:126], s[44:45]
	v_add_f64 v[34:35], v[34:35], v[80:81]
	v_mul_f64 v[125:126], v[125:126], s[24:25]
	v_add_f64 v[32:33], v[82:83], v[32:33]
	v_fma_f64 v[80:81], v[231:232], s[10:11], -v[131:132]
	v_add_f64 v[80:81], v[80:81], v[86:87]
	v_mul_f64 v[86:87], v[121:122], s[44:45]
	v_mul_f64 v[121:122], v[121:122], s[24:25]
	v_fma_f64 v[82:83], v[233:234], s[10:11], v[86:87]
	v_fma_f64 v[86:87], v[233:234], s[10:11], -v[86:87]
	v_add_f64 v[82:83], v[82:83], v[110:111]
	v_add_f64 v[86:87], v[86:87], v[108:109]
	v_fma_f64 v[108:109], v[231:232], s[18:19], -v[125:126]
	v_fma_f64 v[110:111], v[231:232], s[10:11], v[131:132]
	v_mul_f64 v[131:132], v[147:148], s[42:43]
	v_add_f64 v[108:109], v[108:109], v[112:113]
	v_fma_f64 v[112:113], v[231:232], s[18:19], v[125:126]
	v_add_f64 v[84:85], v[110:111], v[84:85]
	v_fma_f64 v[110:111], v[233:234], s[18:19], v[121:122]
	v_mul_f64 v[125:126], v[143:144], s[34:35]
	v_add_f64 v[112:113], v[112:113], v[2:3]
	v_fma_f64 v[2:3], v[233:234], s[18:19], -v[121:122]
	v_add_f64 v[110:111], v[110:111], v[114:115]
	v_mul_f64 v[121:122], v[147:148], s[34:35]
	v_add_f64 v[114:115], v[2:3], v[0:1]
	v_fma_f64 v[2:3], v[253:254], s[20:21], -v[125:126]
	v_fma_f64 v[0:1], v[251:252], s[20:21], v[121:122]
	v_add_f64 v[2:3], v[2:3], v[6:7]
	v_fma_f64 v[6:7], v[253:254], s[2:3], -v[135:136]
	v_add_f64 v[0:1], v[0:1], v[4:5]
	v_fma_f64 v[4:5], v[251:252], s[2:3], v[131:132]
	v_add_f64 v[6:7], v[6:7], v[139:140]
	v_mul_f64 v[139:140], v[147:148], s[30:31]
	v_add_f64 v[4:5], v[4:5], v[8:9]
	v_fma_f64 v[8:9], v[251:252], s[16:17], v[139:140]
	v_add_f64 v[8:9], v[8:9], v[145:146]
	v_fma_f64 v[145:146], v[253:254], s[16:17], -v[141:142]
	v_add_f64 v[10:11], v[145:146], v[10:11]
	v_mul_f64 v[145:146], v[147:148], s[44:45]
	v_fma_f64 v[157:158], v[251:252], s[10:11], v[145:146]
	v_add_f64 v[12:13], v[157:158], v[12:13]
	v_fma_f64 v[157:158], v[253:254], s[10:11], -v[149:150]
	v_add_f64 v[14:15], v[157:158], v[14:15]
	v_mul_f64 v[157:158], v[147:148], s[26:27]
	v_fma_f64 v[159:160], v[251:252], s[22:23], -v[157:158]
	v_fma_f64 v[157:158], v[251:252], s[22:23], v[157:158]
	v_add_f64 v[16:17], v[159:160], v[16:17]
	v_mul_f64 v[159:160], v[143:144], s[26:27]
	v_add_f64 v[20:21], v[157:158], v[20:21]
	v_fma_f64 v[157:158], v[253:254], s[22:23], -v[159:160]
	v_fma_f64 v[161:162], v[253:254], s[22:23], v[159:160]
	v_add_f64 v[22:23], v[157:158], v[22:23]
	v_mul_f64 v[157:158], v[147:148], s[28:29]
	v_add_f64 v[18:19], v[161:162], v[18:19]
	;; [unrolled: 5-line block ×3, first 2 shown]
	v_fma_f64 v[157:158], v[253:254], s[4:5], -v[159:160]
	v_fma_f64 v[161:162], v[253:254], s[4:5], v[159:160]
	v_add_f64 v[34:35], v[157:158], v[34:35]
	v_mul_f64 v[157:158], v[147:148], s[24:25]
	v_mul_f64 v[147:148], v[147:148], s[36:37]
	v_add_f64 v[26:27], v[161:162], v[26:27]
	v_fma_f64 v[159:160], v[251:252], s[18:19], -v[157:158]
	v_fma_f64 v[157:158], v[251:252], s[18:19], v[157:158]
	v_add_f64 v[80:81], v[159:160], v[80:81]
	v_mul_f64 v[159:160], v[143:144], s[24:25]
	v_add_f64 v[84:85], v[157:158], v[84:85]
	v_mul_f64 v[143:144], v[143:144], s[36:37]
	v_fma_f64 v[157:158], v[253:254], s[18:19], -v[159:160]
	v_fma_f64 v[161:162], v[253:254], s[18:19], v[159:160]
	v_add_f64 v[86:87], v[157:158], v[86:87]
	v_fma_f64 v[157:158], v[251:252], s[14:15], -v[147:148]
	v_fma_f64 v[147:148], v[251:252], s[14:15], v[147:148]
	v_add_f64 v[82:83], v[161:162], v[82:83]
	v_add_f64 v[108:109], v[157:158], v[108:109]
	v_fma_f64 v[157:158], v[253:254], s[14:15], v[143:144]
	v_fma_f64 v[143:144], v[253:254], s[14:15], -v[143:144]
	v_add_f64 v[112:113], v[147:148], v[112:113]
	v_add_f64 v[110:111], v[157:158], v[110:111]
	;; [unrolled: 1-line block ×3, first 2 shown]
	s_and_saveexec_b64 s[24:25], vcc
	s_cbranch_execz .LBB0_7
; %bb.6:
	v_add_f64 v[90:91], v[90:91], v[30:31]
	v_add_f64 v[88:89], v[88:89], v[28:29]
	v_mul_f64 v[159:160], v[153:154], s[4:5]
	v_mul_f64 v[161:162], v[171:172], s[14:15]
	;; [unrolled: 1-line block ×3, first 2 shown]
	v_add_f64 v[90:91], v[94:95], v[90:91]
	v_add_f64 v[88:89], v[92:93], v[88:89]
	v_mul_f64 v[94:95], v[233:234], s[22:23]
	v_add_f64 v[157:158], v[215:216], v[157:158]
	v_mul_f64 v[215:216], v[251:252], s[16:17]
	v_add_f64 v[90:91], v[98:99], v[90:91]
	v_add_f64 v[88:89], v[96:97], v[88:89]
	;; [unrolled: 1-line block ×3, first 2 shown]
	v_mul_f64 v[98:99], v[193:194], s[4:5]
	v_mul_f64 v[96:97], v[213:214], s[16:17]
	v_add_f64 v[90:91], v[102:103], v[90:91]
	v_add_f64 v[88:89], v[100:101], v[88:89]
	v_mul_f64 v[102:103], v[155:156], s[18:19]
	v_mul_f64 v[100:101], v[173:174], s[2:3]
	v_add_f64 v[98:99], v[225:226], v[98:99]
	v_add_f64 v[96:97], v[245:246], v[96:97]
	;; [unrolled: 1-line block ×3, first 2 shown]
	buffer_load_dword v106, off, s[60:63], 0 offset:128 ; 4-byte Folded Reload
	buffer_load_dword v107, off, s[60:63], 0 offset:132 ; 4-byte Folded Reload
	;; [unrolled: 1-line block ×8, first 2 shown]
	v_add_f64 v[88:89], v[104:105], v[88:89]
	v_mul_f64 v[104:105], v[137:138], s[20:21]
	v_add_f64 v[102:103], v[183:184], v[102:103]
	v_add_f64 v[100:101], v[205:206], v[100:101]
	v_mul_f64 v[90:91], v[253:254], s[10:11]
	v_mul_f64 v[205:206], v[211:212], s[2:3]
	v_add_f64 v[38:39], v[38:39], v[92:93]
	v_add_f64 v[36:37], v[36:37], v[88:89]
	;; [unrolled: 1-line block ×3, first 2 shown]
	v_mul_f64 v[149:150], v[127:128], s[2:3]
	v_add_f64 v[92:93], v[205:206], -v[229:230]
	v_add_f64 v[38:39], v[42:43], v[38:39]
	v_add_f64 v[36:37], v[40:41], v[36:37]
	;; [unrolled: 1-line block ×16, first 2 shown]
	s_waitcnt vmcnt(6)
	v_add_f64 v[104:105], v[106:107], v[104:105]
	v_mul_f64 v[106:107], v[127:128], s[14:15]
	v_add_f64 v[58:59], v[38:39], v[74:75]
	v_add_f64 v[36:37], v[72:73], v[36:37]
	s_waitcnt vmcnt(4)
	v_add_f64 v[106:107], v[129:130], v[106:107]
	v_mul_f64 v[129:130], v[211:212], s[16:17]
	v_add_f64 v[106:107], v[30:31], v[106:107]
	v_add_f64 v[129:130], v[129:130], -v[243:244]
	v_add_f64 v[104:105], v[104:105], v[106:107]
	v_mul_f64 v[106:107], v[153:154], s[18:19]
	v_add_f64 v[102:103], v[102:103], v[104:105]
	v_mul_f64 v[104:105], v[123:124], s[14:15]
	v_add_f64 v[106:107], v[106:107], -v[177:178]
	v_add_f64 v[100:101], v[100:101], v[102:103]
	s_waitcnt vmcnt(2)
	v_add_f64 v[104:105], v[104:105], -v[143:144]
	v_mul_f64 v[143:144], v[133:134], s[20:21]
	v_mul_f64 v[102:103], v[171:172], s[2:3]
	v_add_f64 v[98:99], v[98:99], v[100:101]
	v_add_f64 v[104:105], v[28:29], v[104:105]
	s_waitcnt vmcnt(0)
	v_add_f64 v[143:144], v[143:144], -v[147:148]
	v_add_f64 v[102:103], v[102:103], -v[201:202]
	v_mul_f64 v[100:101], v[137:138], s[22:23]
	v_mul_f64 v[201:202], v[213:214], s[18:19]
	v_add_f64 v[96:97], v[96:97], v[98:99]
	v_mul_f64 v[98:99], v[231:232], s[22:23]
	v_add_f64 v[104:105], v[143:144], v[104:105]
	buffer_load_dword v143, off, s[60:63], 0 offset:48 ; 4-byte Folded Reload
	buffer_load_dword v144, off, s[60:63], 0 offset:52 ; 4-byte Folded Reload
	;; [unrolled: 1-line block ×4, first 2 shown]
	v_add_f64 v[94:95], v[94:95], v[96:97]
	v_add_f64 v[98:99], v[98:99], -v[118:119]
	v_add_f64 v[104:105], v[106:107], v[104:105]
	v_mul_f64 v[106:107], v[191:192], s[4:5]
	v_mul_f64 v[118:119], v[251:252], s[10:11]
	;; [unrolled: 1-line block ×3, first 2 shown]
	v_add_f64 v[90:91], v[90:91], v[94:95]
	v_add_f64 v[102:103], v[102:103], v[104:105]
	v_mul_f64 v[104:105], v[127:128], s[4:5]
	v_add_f64 v[106:107], v[106:107], -v[221:222]
	v_add_f64 v[118:119], v[118:119], -v[145:146]
	v_mul_f64 v[145:146], v[233:234], s[14:15]
	v_mul_f64 v[127:128], v[127:128], s[10:11]
	;; [unrolled: 1-line block ×3, first 2 shown]
	v_add_f64 v[102:103], v[106:107], v[102:103]
	v_mul_f64 v[106:107], v[123:124], s[10:11]
	v_add_f64 v[116:117], v[116:117], v[145:146]
	v_mul_f64 v[145:146], v[153:154], s[22:23]
	v_mul_f64 v[153:154], v[153:154], s[20:21]
	v_add_f64 v[88:89], v[141:142], v[221:222]
	v_add_f64 v[102:103], v[129:130], v[102:103]
	v_mul_f64 v[129:130], v[137:138], s[10:11]
	v_mul_f64 v[137:138], v[137:138], s[14:15]
	v_add_f64 v[153:154], v[153:154], -v[169:170]
	v_mul_f64 v[169:170], v[191:192], s[18:19]
	v_add_f64 v[98:99], v[98:99], v[102:103]
	v_mul_f64 v[102:103], v[213:214], s[2:3]
	v_add_f64 v[102:103], v[235:236], v[102:103]
	s_waitcnt vmcnt(2)
	v_add_f64 v[104:105], v[143:144], v[104:105]
	v_mul_f64 v[143:144], v[155:156], s[20:21]
	s_waitcnt vmcnt(0)
	v_add_f64 v[100:101], v[147:148], v[100:101]
	v_mul_f64 v[147:148], v[123:124], s[2:3]
	v_mul_f64 v[123:124], v[123:124], s[4:5]
	v_add_f64 v[104:105], v[30:31], v[104:105]
	v_add_f64 v[143:144], v[175:176], v[143:144]
	buffer_load_dword v175, off, s[60:63], 0 offset:32 ; 4-byte Folded Reload
	buffer_load_dword v176, off, s[60:63], 0 offset:36 ; 4-byte Folded Reload
	;; [unrolled: 1-line block ×6, first 2 shown]
	v_add_f64 v[100:101], v[100:101], v[104:105]
	v_mul_f64 v[104:105], v[173:174], s[18:19]
	v_add_f64 v[100:101], v[143:144], v[100:101]
	v_add_f64 v[104:105], v[195:196], v[104:105]
	buffer_load_dword v195, off, s[60:63], 0 offset:104 ; 4-byte Folded Reload
	buffer_load_dword v196, off, s[60:63], 0 offset:108 ; 4-byte Folded Reload
	v_mul_f64 v[143:144], v[133:134], s[14:15]
	v_mul_f64 v[133:134], v[133:134], s[22:23]
	v_add_f64 v[100:101], v[104:105], v[100:101]
	v_mul_f64 v[104:105], v[155:156], s[4:5]
	v_mul_f64 v[155:156], v[155:156], s[22:23]
	v_add_f64 v[100:101], v[157:158], v[100:101]
	;; [unrolled: 3-line block ×3, first 2 shown]
	v_add_f64 v[48:49], v[163:164], v[104:105]
	v_mul_f64 v[167:168], v[213:214], s[22:23]
	v_mul_f64 v[213:214], v[231:232], s[14:15]
	v_add_f64 v[100:101], v[102:103], v[100:101]
	v_add_f64 v[102:103], v[227:228], v[201:202]
	v_add_f64 v[173:174], v[189:190], v[173:174]
	v_add_f64 v[54:55], v[181:182], v[157:158]
	v_mul_f64 v[189:190], v[233:234], s[16:17]
	v_add_f64 v[40:41], v[213:214], -v[249:250]
	v_add_f64 v[100:101], v[116:117], v[100:101]
	s_waitcnt vmcnt(6)
	v_add_f64 v[127:128], v[175:176], v[127:128]
	s_waitcnt vmcnt(4)
	v_add_f64 v[123:124], v[123:124], -v[177:178]
	v_mul_f64 v[175:176], v[171:172], s[20:21]
	v_mul_f64 v[171:172], v[171:172], s[18:19]
	s_waitcnt vmcnt(2)
	v_add_f64 v[137:138], v[183:184], v[137:138]
	v_mul_f64 v[183:184], v[191:192], s[16:17]
	v_mul_f64 v[191:192], v[191:192], s[10:11]
	;; [unrolled: 1-line block ×3, first 2 shown]
	v_add_f64 v[127:128], v[30:31], v[127:128]
	v_add_f64 v[123:124], v[28:29], v[123:124]
	v_mul_f64 v[193:194], v[193:194], s[16:17]
	v_add_f64 v[171:172], v[171:172], -v[187:188]
	v_add_f64 v[52:53], v[175:176], -v[151:152]
	v_mul_f64 v[187:188], v[251:252], s[20:21]
	v_add_f64 v[94:95], v[191:192], -v[207:208]
	s_waitcnt vmcnt(0)
	v_add_f64 v[133:134], v[133:134], -v[195:196]
	v_add_f64 v[127:128], v[137:138], v[127:128]
	v_add_f64 v[193:194], v[209:210], v[193:194]
	v_mul_f64 v[195:196], v[211:212], s[22:23]
	v_mul_f64 v[137:138], v[211:212], s[18:19]
	;; [unrolled: 1-line block ×4, first 2 shown]
	v_add_f64 v[56:57], v[187:188], -v[121:122]
	v_add_f64 v[123:124], v[133:134], v[123:124]
	v_add_f64 v[127:128], v[155:156], v[127:128]
	v_mul_f64 v[155:156], v[231:232], s[4:5]
	v_mul_f64 v[133:134], v[231:232], s[16:17]
	v_add_f64 v[116:117], v[247:248], v[211:212]
	v_add_f64 v[123:124], v[153:154], v[123:124]
	;; [unrolled: 1-line block ×3, first 2 shown]
	v_mul_f64 v[153:154], v[253:254], s[20:21]
	v_mul_f64 v[173:174], v[253:254], s[2:3]
	v_add_f64 v[123:124], v[171:172], v[123:124]
	v_add_f64 v[127:128], v[193:194], v[127:128]
	;; [unrolled: 1-line block ×4, first 2 shown]
	v_add_f64 v[123:124], v[215:216], -v[139:140]
	v_add_f64 v[42:43], v[92:93], v[94:95]
	buffer_load_dword v94, off, s[60:63], 0 offset:16 ; 4-byte Folded Reload
	buffer_load_dword v95, off, s[60:63], 0 offset:20 ; 4-byte Folded Reload
	;; [unrolled: 1-line block ×6, first 2 shown]
	v_add_f64 v[102:103], v[116:117], v[102:103]
	v_add_f64 v[92:93], v[135:136], v[173:174]
	v_add_f64 v[60:61], v[40:41], v[42:43]
	v_add_f64 v[38:39], v[92:93], v[102:103]
	s_waitcnt vmcnt(4)
	v_add_f64 v[94:95], v[94:95], v[149:150]
	s_waitcnt vmcnt(2)
	v_add_f64 v[44:45], v[147:148], -v[44:45]
	s_waitcnt vmcnt(0)
	v_add_f64 v[46:47], v[106:107], -v[46:47]
	buffer_load_dword v106, off, s[60:63], 0 offset:88 ; 4-byte Folded Reload
	buffer_load_dword v107, off, s[60:63], 0 offset:92 ; 4-byte Folded Reload
	;; [unrolled: 1-line block ×4, first 2 shown]
	v_add_f64 v[30:31], v[30:31], v[94:95]
	buffer_load_dword v94, off, s[60:63], 0 offset:72 ; 4-byte Folded Reload
	buffer_load_dword v95, off, s[60:63], 0 offset:76 ; 4-byte Folded Reload
	;; [unrolled: 1-line block ×4, first 2 shown]
	v_add_f64 v[44:45], v[28:29], v[44:45]
	v_add_f64 v[28:29], v[28:29], v[46:47]
	v_add_f64 v[46:47], v[145:146], -v[165:166]
	s_waitcnt vmcnt(6)
	v_add_f64 v[106:107], v[143:144], -v[106:107]
	s_waitcnt vmcnt(4)
	v_add_f64 v[116:117], v[116:117], v[129:130]
	s_waitcnt vmcnt(2)
	v_add_f64 v[94:95], v[96:97], -v[94:95]
	s_waitcnt vmcnt(0)
	v_add_f64 v[50:51], v[159:160], -v[50:51]
	v_add_f64 v[28:29], v[106:107], v[28:29]
	v_add_f64 v[30:31], v[116:117], v[30:31]
	;; [unrolled: 1-line block ×5, first 2 shown]
	v_add_f64 v[48:49], v[161:162], -v[179:180]
	v_add_f64 v[46:47], v[183:184], -v[203:204]
	v_add_f64 v[44:45], v[50:51], v[44:45]
	v_add_f64 v[50:51], v[199:200], v[177:178]
	;; [unrolled: 1-line block ×4, first 2 shown]
	v_add_f64 v[54:55], v[169:170], -v[197:198]
	v_add_f64 v[52:53], v[219:220], v[167:168]
	v_add_f64 v[44:45], v[48:49], v[44:45]
	v_add_f64 v[48:49], v[137:138], -v[223:224]
	v_add_f64 v[28:29], v[46:47], v[28:29]
	v_add_f64 v[30:31], v[50:51], v[30:31]
	v_add_f64 v[50:51], v[195:196], -v[217:218]
	v_add_f64 v[46:47], v[155:156], -v[241:242]
	v_add_f64 v[44:45], v[54:55], v[44:45]
	v_add_f64 v[54:55], v[239:240], v[189:190]
	;; [unrolled: 1-line block ×4, first 2 shown]
	v_add_f64 v[52:53], v[133:134], -v[237:238]
	v_add_f64 v[48:49], v[209:210], -v[131:132]
	v_add_f64 v[44:45], v[50:51], v[44:45]
	v_add_f64 v[50:51], v[125:126], v[153:154]
	;; [unrolled: 1-line block ×10, first 2 shown]
	buffer_load_dword v48, off, s[60:63], 0 ; 4-byte Folded Reload
	v_add_f64 v[42:43], v[50:51], v[54:55]
	v_add_f64 v[28:29], v[123:124], v[60:61]
	;; [unrolled: 1-line block ×3, first 2 shown]
	s_waitcnt vmcnt(0)
	v_add_lshl_u32 v48, v48, v186, 4
	ds_write_b128 v48, v[44:47]
	ds_write_b128 v48, v[40:43] offset:16
	ds_write_b128 v48, v[36:39] offset:32
	;; [unrolled: 1-line block ×16, first 2 shown]
.LBB0_7:
	s_or_b64 exec, exec, s[24:25]
	v_lshlrev_b32_e32 v48, 6, v255
	s_load_dwordx4 s[0:3], s[0:1], 0x0
	s_waitcnt lgkmcnt(0)
	s_barrier
	global_load_dwordx4 v[44:47], v48, s[8:9]
	global_load_dwordx4 v[40:43], v48, s[8:9] offset:16
	global_load_dwordx4 v[36:39], v48, s[8:9] offset:32
	;; [unrolled: 1-line block ×3, first 2 shown]
	s_mov_b32 s10, 0x134454ff
	buffer_load_dword v48, off, s[60:63], 0 ; 4-byte Folded Reload
	s_mov_b32 s11, 0x3fee6f0e
	s_mov_b32 s15, 0xbfee6f0e
	;; [unrolled: 1-line block ×9, first 2 shown]
	s_waitcnt vmcnt(0)
	v_add_lshl_u32 v188, v48, v255, 4
	ds_read_b128 v[48:51], v188
	ds_read_b128 v[52:55], v188 offset:272
	ds_read_b128 v[56:59], v188 offset:544
	;; [unrolled: 1-line block ×4, first 2 shown]
	s_waitcnt lgkmcnt(2)
	v_mul_f64 v[72:73], v[58:59], v[42:43]
	v_mul_f64 v[68:69], v[54:55], v[46:47]
	s_waitcnt lgkmcnt(1)
	v_mul_f64 v[76:77], v[62:63], v[38:39]
	s_waitcnt lgkmcnt(0)
	v_mul_f64 v[90:91], v[66:67], v[30:31]
	v_mul_f64 v[70:71], v[52:53], v[46:47]
	;; [unrolled: 1-line block ×5, first 2 shown]
	v_fma_f64 v[56:57], v[56:57], v[40:41], -v[72:73]
	v_fma_f64 v[52:53], v[52:53], v[44:45], -v[68:69]
	;; [unrolled: 1-line block ×4, first 2 shown]
	v_fma_f64 v[54:55], v[54:55], v[44:45], v[70:71]
	v_fma_f64 v[58:59], v[58:59], v[40:41], v[74:75]
	;; [unrolled: 1-line block ×4, first 2 shown]
	v_add_f64 v[68:69], v[48:49], v[52:53]
	v_add_f64 v[70:71], v[56:57], v[60:61]
	;; [unrolled: 1-line block ×3, first 2 shown]
	v_add_f64 v[76:77], v[52:53], -v[56:57]
	v_add_f64 v[78:79], v[64:65], -v[60:61]
	;; [unrolled: 1-line block ×6, first 2 shown]
	v_add_f64 v[94:95], v[50:51], v[54:55]
	v_add_f64 v[98:99], v[56:57], -v[60:61]
	v_add_f64 v[100:101], v[54:55], -v[58:59]
	v_add_f64 v[104:105], v[54:55], v[66:67]
	v_add_f64 v[54:55], v[58:59], -v[54:55]
	v_add_f64 v[106:107], v[62:63], -v[66:67]
	v_add_f64 v[56:57], v[68:69], v[56:57]
	v_fma_f64 v[68:69], v[70:71], -0.5, v[48:49]
	v_fma_f64 v[48:49], v[88:89], -0.5, v[48:49]
	v_add_f64 v[70:71], v[76:77], v[78:79]
	v_add_f64 v[76:77], v[90:91], v[92:93]
	v_add_f64 v[52:53], v[52:53], -v[64:65]
	v_add_f64 v[96:97], v[58:59], v[62:63]
	v_add_f64 v[90:91], v[54:55], v[106:107]
	;; [unrolled: 1-line block ×3, first 2 shown]
	v_fma_f64 v[56:57], v[72:73], s[10:11], v[68:69]
	v_fma_f64 v[60:61], v[72:73], s[14:15], v[68:69]
	;; [unrolled: 1-line block ×4, first 2 shown]
	v_add_f64 v[58:59], v[94:95], v[58:59]
	v_fma_f64 v[78:79], v[96:97], -0.5, v[50:51]
	v_fma_f64 v[50:51], v[104:105], -0.5, v[50:51]
	v_add_f64 v[48:49], v[54:55], v[64:65]
	v_fma_f64 v[54:55], v[74:75], s[4:5], v[56:57]
	v_fma_f64 v[56:57], v[74:75], s[16:17], v[60:61]
	;; [unrolled: 1-line block ×4, first 2 shown]
	v_add_f64 v[102:103], v[66:67], -v[62:63]
	v_add_f64 v[58:59], v[58:59], v[62:63]
	v_fma_f64 v[62:63], v[52:53], s[14:15], v[78:79]
	v_fma_f64 v[78:79], v[52:53], s[10:11], v[78:79]
	;; [unrolled: 1-line block ×6, first 2 shown]
	buffer_load_dword v68, off, s[60:63], 0 offset:4 ; 4-byte Folded Reload
	v_fma_f64 v[96:97], v[98:99], s[14:15], v[50:51]
	v_add_f64 v[88:89], v[100:101], v[102:103]
	v_add_f64 v[50:51], v[58:59], v[66:67]
	v_fma_f64 v[58:59], v[98:99], s[16:17], v[62:63]
	v_fma_f64 v[62:63], v[52:53], s[16:17], v[94:95]
	;; [unrolled: 1-line block ×9, first 2 shown]
	s_waitcnt vmcnt(0)
	v_lshl_add_u32 v187, v255, 4, v68
	ds_write_b128 v187, v[48:51]
	ds_write_b128 v187, v[52:55] offset:272
	ds_write_b128 v187, v[56:59] offset:544
	;; [unrolled: 1-line block ×4, first 2 shown]
	s_waitcnt lgkmcnt(0)
	s_barrier
	s_and_saveexec_b64 s[4:5], vcc
	s_cbranch_execz .LBB0_9
; %bb.8:
	global_load_dwordx4 v[72:75], v185, s[6:7] offset:1360
	ds_read_b128 v[68:71], v187
	s_add_u32 s8, s6, 0x550
	s_addc_u32 s9, s7, 0
	s_waitcnt vmcnt(0) lgkmcnt(0)
	v_mul_f64 v[76:77], v[70:71], v[74:75]
	v_fma_f64 v[76:77], v[68:69], v[72:73], -v[76:77]
	v_mul_f64 v[68:69], v[68:69], v[74:75]
	v_fma_f64 v[78:79], v[70:71], v[72:73], v[68:69]
	global_load_dwordx4 v[72:75], v185, s[8:9] offset:80
	ds_read_b128 v[68:71], v187 offset:80
	ds_write_b128 v187, v[76:79]
	s_waitcnt vmcnt(0) lgkmcnt(1)
	v_mul_f64 v[76:77], v[70:71], v[74:75]
	v_fma_f64 v[76:77], v[68:69], v[72:73], -v[76:77]
	v_mul_f64 v[68:69], v[68:69], v[74:75]
	v_fma_f64 v[78:79], v[70:71], v[72:73], v[68:69]
	global_load_dwordx4 v[72:75], v185, s[8:9] offset:160
	ds_read_b128 v[68:71], v187 offset:160
	ds_write_b128 v187, v[76:79] offset:80
	s_waitcnt vmcnt(0) lgkmcnt(1)
	v_mul_f64 v[76:77], v[70:71], v[74:75]
	v_fma_f64 v[76:77], v[68:69], v[72:73], -v[76:77]
	v_mul_f64 v[68:69], v[68:69], v[74:75]
	v_fma_f64 v[78:79], v[70:71], v[72:73], v[68:69]
	global_load_dwordx4 v[72:75], v185, s[8:9] offset:240
	ds_read_b128 v[68:71], v187 offset:240
	ds_write_b128 v187, v[76:79] offset:160
	;; [unrolled: 8-line block ×15, first 2 shown]
	s_waitcnt vmcnt(0) lgkmcnt(1)
	v_mul_f64 v[76:77], v[70:71], v[74:75]
	v_fma_f64 v[76:77], v[68:69], v[72:73], -v[76:77]
	v_mul_f64 v[68:69], v[68:69], v[74:75]
	v_fma_f64 v[78:79], v[70:71], v[72:73], v[68:69]
	ds_write_b128 v187, v[76:79] offset:1280
.LBB0_9:
	s_or_b64 exec, exec, s[4:5]
	s_waitcnt lgkmcnt(0)
	s_barrier
	s_and_saveexec_b64 s[4:5], vcc
	s_cbranch_execz .LBB0_11
; %bb.10:
	ds_read_b128 v[48:51], v187
	ds_read_b128 v[52:55], v187 offset:80
	ds_read_b128 v[56:59], v187 offset:160
	;; [unrolled: 1-line block ×16, first 2 shown]
.LBB0_11:
	s_or_b64 exec, exec, s[4:5]
	s_waitcnt lgkmcnt(0)
	s_barrier
	s_and_saveexec_b64 s[4:5], vcc
	s_cbranch_execz .LBB0_13
; %bb.12:
	v_add_f64 v[183:184], v[52:53], -v[0:1]
	s_mov_b32 s18, 0xacd6c6b4
	s_mov_b32 s19, 0xbfc7851a
	v_add_f64 v[181:182], v[56:57], -v[4:5]
	v_add_f64 v[137:138], v[54:55], v[2:3]
	s_mov_b32 s38, 0x5d8e7cdc
	s_mov_b32 s14, 0x7faef3
	;; [unrolled: 1-line block ×3, first 2 shown]
	v_mul_f64 v[70:71], v[183:184], s[18:19]
	s_mov_b32 s15, 0xbfef7484
	v_add_f64 v[147:148], v[60:61], -v[8:9]
	v_mul_f64 v[74:75], v[181:182], s[38:39]
	v_add_f64 v[133:134], v[58:59], v[6:7]
	s_mov_b32 s24, 0x4363dd80
	s_mov_b32 s20, 0x370991
	;; [unrolled: 1-line block ×3, first 2 shown]
	v_fma_f64 v[76:77], v[137:138], s[14:15], v[70:71]
	s_mov_b32 s21, 0x3fedd6d0
	v_add_f64 v[145:146], v[64:65], -v[12:13]
	v_mul_f64 v[78:79], v[147:148], s[24:25]
	v_add_f64 v[135:136], v[62:63], v[10:11]
	v_fma_f64 v[88:89], v[133:134], s[20:21], v[74:75]
	s_mov_b32 s46, 0x2a9d6da3
	s_mov_b32 s16, 0x910ea3b9
	v_add_f64 v[76:77], v[50:51], v[76:77]
	s_mov_b32 s47, 0x3fe58eea
	s_mov_b32 s17, 0xbfeb34fa
	v_add_f64 v[143:144], v[16:17], -v[20:21]
	v_mul_f64 v[90:91], v[145:146], s[46:47]
	v_add_f64 v[131:132], v[66:67], v[14:15]
	v_fma_f64 v[92:93], v[135:136], s[16:17], v[78:79]
	s_mov_b32 s28, 0x6c9a05f6
	v_add_f64 v[76:77], v[88:89], v[76:77]
	s_mov_b32 s22, 0x75d4884
	s_mov_b32 s29, 0xbfe9895b
	;; [unrolled: 1-line block ×3, first 2 shown]
	v_add_f64 v[139:140], v[24:25], -v[32:33]
	v_mul_f64 v[88:89], v[143:144], s[28:29]
	v_add_f64 v[129:130], v[18:19], v[22:23]
	v_fma_f64 v[94:95], v[131:132], s[22:23], v[90:91]
	v_add_f64 v[76:77], v[92:93], v[76:77]
	v_add_f64 v[157:158], v[54:55], -v[2:3]
	s_mov_b32 s42, 0x7c9e640b
	s_mov_b32 s26, 0x6ed5f1bb
	;; [unrolled: 1-line block ×4, first 2 shown]
	v_mul_f64 v[92:93], v[139:140], s[42:43]
	v_add_f64 v[127:128], v[26:27], v[34:35]
	v_fma_f64 v[96:97], v[129:130], s[26:27], v[88:89]
	v_add_f64 v[76:77], v[94:95], v[76:77]
	v_add_f64 v[155:156], v[58:59], -v[6:7]
	v_add_f64 v[153:154], v[52:53], v[0:1]
	v_mul_f64 v[94:95], v[157:158], s[18:19]
	s_mov_b32 s34, 0x2b2883cd
	s_mov_b32 s35, 0x3fdc86fa
	v_fma_f64 v[98:99], v[127:128], s[34:35], v[92:93]
	v_add_f64 v[159:160], v[62:63], -v[10:11]
	v_add_f64 v[76:77], v[96:97], v[76:77]
	v_add_f64 v[151:152], v[56:57], v[4:5]
	v_mul_f64 v[96:97], v[155:156], s[38:39]
	v_fma_f64 v[100:101], v[153:154], s[14:15], -v[94:95]
	v_add_f64 v[163:164], v[66:67], -v[14:15]
	v_add_f64 v[149:150], v[60:61], v[8:9]
	v_add_f64 v[165:166], v[18:19], -v[22:23]
	v_fma_f64 v[70:71], v[137:138], s[14:15], -v[70:71]
	v_add_f64 v[76:77], v[98:99], v[76:77]
	v_mul_f64 v[98:99], v[159:160], s[24:25]
	v_fma_f64 v[104:105], v[151:152], s[20:21], -v[96:97]
	v_add_f64 v[100:101], v[48:49], v[100:101]
	v_add_f64 v[161:162], v[64:65], v[12:13]
	v_mul_f64 v[106:107], v[163:164], s[46:47]
	v_fma_f64 v[94:95], v[153:154], s[14:15], v[94:95]
	v_add_f64 v[179:180], v[26:27], -v[34:35]
	v_fma_f64 v[74:75], v[133:134], s[20:21], -v[74:75]
	v_fma_f64 v[116:117], v[149:150], s[16:17], -v[98:99]
	v_add_f64 v[70:71], v[50:51], v[70:71]
	v_add_f64 v[100:101], v[104:105], v[100:101]
	;; [unrolled: 1-line block ×3, first 2 shown]
	v_mul_f64 v[104:105], v[165:166], s[28:29]
	v_fma_f64 v[118:119], v[161:162], s[22:23], -v[106:107]
	v_fma_f64 v[96:97], v[151:152], s[20:21], v[96:97]
	v_add_f64 v[94:95], v[48:49], v[94:95]
	v_add_f64 v[125:126], v[80:81], -v[84:85]
	v_fma_f64 v[78:79], v[135:136], s[16:17], -v[78:79]
	v_add_f64 v[100:101], v[116:117], v[100:101]
	v_add_f64 v[70:71], v[74:75], v[70:71]
	;; [unrolled: 1-line block ×3, first 2 shown]
	v_mul_f64 v[74:75], v[179:180], s[42:43]
	v_fma_f64 v[116:117], v[177:178], s[26:27], -v[104:105]
	v_fma_f64 v[98:99], v[149:150], s[16:17], v[98:99]
	v_add_f64 v[94:95], v[96:97], v[94:95]
	s_mov_b32 s10, 0x923c349f
	v_add_f64 v[100:101], v[118:119], v[100:101]
	s_mov_b32 s11, 0xbfeec746
	v_add_f64 v[123:124], v[108:109], -v[112:113]
	v_mul_f64 v[68:69], v[125:126], s[10:11]
	v_add_f64 v[141:142], v[82:83], v[86:87]
	v_add_f64 v[173:174], v[82:83], -v[86:87]
	v_fma_f64 v[90:91], v[131:132], s[22:23], -v[90:91]
	v_add_f64 v[70:71], v[78:79], v[70:71]
	v_fma_f64 v[96:97], v[175:176], s[34:35], -v[74:75]
	v_add_f64 v[100:101], v[116:117], v[100:101]
	v_fma_f64 v[106:107], v[161:162], s[22:23], v[106:107]
	v_add_f64 v[94:95], v[98:99], v[94:95]
	s_mov_b32 s50, 0xeb564b22
	s_mov_b32 s30, 0xc61f0d01
	;; [unrolled: 1-line block ×4, first 2 shown]
	v_add_f64 v[121:122], v[110:111], v[114:115]
	v_mul_f64 v[72:73], v[123:124], s[50:51]
	v_fma_f64 v[102:103], v[141:142], s[30:31], v[68:69]
	v_add_f64 v[169:170], v[110:111], -v[114:115]
	v_add_f64 v[171:172], v[80:81], v[84:85]
	v_mul_f64 v[78:79], v[173:174], s[10:11]
	v_fma_f64 v[88:89], v[129:130], s[26:27], -v[88:89]
	v_add_f64 v[70:71], v[90:91], v[70:71]
	v_add_f64 v[96:97], v[96:97], v[100:101]
	v_fma_f64 v[100:101], v[177:178], s[26:27], v[104:105]
	v_add_f64 v[94:95], v[106:107], v[94:95]
	s_mov_b32 s8, 0x3259b75e
	s_mov_b32 s9, 0x3fb79ee6
	v_add_f64 v[167:168], v[108:109], v[112:113]
	v_mul_f64 v[90:91], v[169:170], s[50:51]
	v_fma_f64 v[98:99], v[171:172], s[30:31], -v[78:79]
	v_fma_f64 v[92:93], v[127:128], s[34:35], -v[92:93]
	v_add_f64 v[70:71], v[88:89], v[70:71]
	v_fma_f64 v[88:89], v[121:122], s[8:9], v[72:73]
	v_add_f64 v[76:77], v[102:103], v[76:77]
	v_fma_f64 v[74:75], v[175:176], s[34:35], v[74:75]
	v_add_f64 v[94:95], v[100:101], v[94:95]
	v_fma_f64 v[102:103], v[167:168], s[8:9], -v[90:91]
	v_add_f64 v[96:97], v[98:99], v[96:97]
	v_fma_f64 v[98:99], v[141:142], s[30:31], -v[68:69]
	v_add_f64 v[92:93], v[92:93], v[70:71]
	v_mul_f64 v[106:107], v[181:182], s[42:43]
	v_add_f64 v[70:71], v[88:89], v[76:77]
	v_fma_f64 v[76:77], v[171:172], s[30:31], v[78:79]
	v_add_f64 v[74:75], v[74:75], v[94:95]
	v_mul_f64 v[189:190], v[155:156], s[42:43]
	v_add_f64 v[68:69], v[102:103], v[96:97]
	v_mul_f64 v[102:103], v[157:158], s[24:25]
	s_mov_b32 s41, 0xbfefdd0d
	s_mov_b32 s40, s50
	v_mul_f64 v[193:194], v[147:148], s[40:41]
	v_fma_f64 v[195:196], v[133:134], s[34:35], v[106:107]
	v_add_f64 v[74:75], v[76:77], v[74:75]
	v_mul_f64 v[76:77], v[183:184], s[24:25]
	v_mul_f64 v[197:198], v[159:160], s[40:41]
	v_fma_f64 v[191:192], v[153:154], s[16:17], -v[102:103]
	v_fma_f64 v[199:200], v[151:152], s[34:35], -v[189:190]
	v_fma_f64 v[102:103], v[153:154], s[16:17], v[102:103]
	s_mov_b32 s55, 0x3fe9895b
	s_mov_b32 s54, s28
	v_mul_f64 v[118:119], v[145:146], s[54:55]
	v_fma_f64 v[116:117], v[137:138], s[16:17], v[76:77]
	v_fma_f64 v[76:77], v[137:138], s[16:17], -v[76:77]
	v_add_f64 v[191:192], v[48:49], v[191:192]
	v_fma_f64 v[203:204], v[135:136], s[8:9], v[193:194]
	v_fma_f64 v[205:206], v[149:150], s[8:9], -v[197:198]
	v_fma_f64 v[106:107], v[133:134], s[34:35], -v[106:107]
	v_fma_f64 v[189:190], v[151:152], s[34:35], v[189:190]
	v_add_f64 v[102:103], v[48:49], v[102:103]
	v_add_f64 v[116:117], v[50:51], v[116:117]
	;; [unrolled: 1-line block ×4, first 2 shown]
	s_mov_b32 s37, 0xbfd71e95
	s_mov_b32 s36, s38
	v_mul_f64 v[94:95], v[143:144], s[36:37]
	v_fma_f64 v[201:202], v[131:132], s[26:27], v[118:119]
	v_mul_f64 v[199:200], v[165:166], s[36:37]
	v_add_f64 v[116:117], v[195:196], v[116:117]
	v_mul_f64 v[195:196], v[163:164], s[54:55]
	v_add_f64 v[191:192], v[205:206], v[191:192]
	v_fma_f64 v[193:194], v[135:136], s[8:9], -v[193:194]
	v_add_f64 v[76:77], v[106:107], v[76:77]
	v_fma_f64 v[106:107], v[149:150], s[8:9], v[197:198]
	v_add_f64 v[102:103], v[189:190], v[102:103]
	v_add_f64 v[78:79], v[98:99], v[92:93]
	;; [unrolled: 1-line block ×3, first 2 shown]
	v_fma_f64 v[203:204], v[161:162], s[26:27], -v[195:196]
	v_mul_f64 v[92:93], v[139:140], s[18:19]
	v_fma_f64 v[104:105], v[129:130], s[20:21], v[94:95]
	v_mul_f64 v[189:190], v[179:180], s[18:19]
	v_fma_f64 v[197:198], v[177:178], s[20:21], -v[199:200]
	v_fma_f64 v[118:119], v[131:132], s[26:27], -v[118:119]
	v_add_f64 v[76:77], v[193:194], v[76:77]
	v_add_f64 v[116:117], v[201:202], v[116:117]
	;; [unrolled: 1-line block ×3, first 2 shown]
	v_fma_f64 v[193:194], v[161:162], s[26:27], v[195:196]
	v_add_f64 v[102:103], v[106:107], v[102:103]
	v_mul_f64 v[88:89], v[125:126], s[46:47]
	v_fma_f64 v[100:101], v[127:128], s[14:15], v[92:93]
	v_mul_f64 v[106:107], v[173:174], s[46:47]
	v_fma_f64 v[94:95], v[129:130], s[20:21], -v[94:95]
	v_add_f64 v[104:105], v[104:105], v[116:117]
	v_fma_f64 v[116:117], v[175:176], s[14:15], -v[189:190]
	v_add_f64 v[191:192], v[197:198], v[191:192]
	v_add_f64 v[76:77], v[118:119], v[76:77]
	v_fma_f64 v[118:119], v[177:178], s[20:21], v[199:200]
	v_add_f64 v[102:103], v[193:194], v[102:103]
	v_fma_f64 v[98:99], v[141:142], s[22:23], v[88:89]
	v_fma_f64 v[193:194], v[171:172], s[22:23], -v[106:107]
	v_add_f64 v[100:101], v[100:101], v[104:105]
	v_mul_f64 v[104:105], v[169:170], s[10:11]
	v_add_f64 v[116:117], v[116:117], v[191:192]
	v_add_f64 v[76:77], v[94:95], v[76:77]
	v_fma_f64 v[94:95], v[175:176], s[14:15], v[189:190]
	v_add_f64 v[102:103], v[118:119], v[102:103]
	v_fma_f64 v[72:73], v[121:122], s[8:9], -v[72:73]
	v_fma_f64 v[90:91], v[167:168], s[8:9], v[90:91]
	v_mul_f64 v[96:97], v[123:124], s[10:11]
	v_fma_f64 v[92:93], v[127:128], s[14:15], -v[92:93]
	v_add_f64 v[98:99], v[98:99], v[100:101]
	v_fma_f64 v[100:101], v[167:168], s[30:31], -v[104:105]
	v_add_f64 v[116:117], v[193:194], v[116:117]
	v_fma_f64 v[106:107], v[171:172], s[22:23], v[106:107]
	v_add_f64 v[94:95], v[94:95], v[102:103]
	v_add_f64 v[78:79], v[72:73], v[78:79]
	v_fma_f64 v[118:119], v[121:122], s[30:31], v[96:97]
	v_add_f64 v[92:93], v[92:93], v[76:77]
	v_add_f64 v[76:77], v[90:91], v[74:75]
	v_fma_f64 v[90:91], v[121:122], s[30:31], -v[96:97]
	v_add_f64 v[72:73], v[100:101], v[116:117]
	v_mul_f64 v[100:101], v[183:184], s[28:29]
	v_add_f64 v[96:97], v[106:107], v[94:95]
	v_mul_f64 v[106:107], v[157:158], s[28:29]
	s_mov_b32 s53, 0x3feec746
	s_mov_b32 s52, s10
	v_mul_f64 v[116:117], v[181:182], s[52:53]
	v_mul_f64 v[193:194], v[155:156], s[52:53]
	;; [unrolled: 1-line block ×3, first 2 shown]
	v_fma_f64 v[189:190], v[137:138], s[26:27], v[100:101]
	v_fma_f64 v[100:101], v[137:138], s[26:27], -v[100:101]
	v_fma_f64 v[195:196], v[153:154], s[26:27], -v[106:107]
	v_mul_f64 v[203:204], v[159:160], s[36:37]
	v_fma_f64 v[88:89], v[141:142], s[22:23], -v[88:89]
	v_fma_f64 v[201:202], v[133:134], s[30:31], v[116:117]
	v_fma_f64 v[205:206], v[151:152], s[30:31], -v[193:194]
	v_fma_f64 v[116:117], v[133:134], s[30:31], -v[116:117]
	v_add_f64 v[189:190], v[50:51], v[189:190]
	v_add_f64 v[100:101], v[50:51], v[100:101]
	;; [unrolled: 1-line block ×3, first 2 shown]
	v_mul_f64 v[207:208], v[145:146], s[24:25]
	v_fma_f64 v[209:210], v[135:136], s[20:21], v[199:200]
	v_fma_f64 v[211:212], v[149:150], s[20:21], -v[203:204]
	v_fma_f64 v[199:200], v[135:136], s[20:21], -v[199:200]
	v_fma_f64 v[106:107], v[153:154], s[26:27], v[106:107]
	v_add_f64 v[189:190], v[201:202], v[189:190]
	v_mul_f64 v[201:202], v[163:164], s[24:25]
	v_add_f64 v[195:196], v[205:206], v[195:196]
	v_add_f64 v[100:101], v[116:117], v[100:101]
	;; [unrolled: 1-line block ×3, first 2 shown]
	v_fma_f64 v[92:93], v[167:168], s[30:31], v[104:105]
	v_mul_f64 v[104:105], v[143:144], s[50:51]
	v_fma_f64 v[205:206], v[131:132], s[16:17], v[207:208]
	v_add_f64 v[116:117], v[209:210], v[189:190]
	v_mul_f64 v[189:190], v[165:166], s[50:51]
	v_fma_f64 v[209:210], v[161:162], s[16:17], -v[201:202]
	v_add_f64 v[195:196], v[211:212], v[195:196]
	v_fma_f64 v[207:208], v[131:132], s[16:17], -v[207:208]
	v_fma_f64 v[193:194], v[151:152], s[30:31], v[193:194]
	v_add_f64 v[106:107], v[48:49], v[106:107]
	v_add_f64 v[100:101], v[199:200], v[100:101]
	s_mov_b32 s45, 0xbfe58eea
	s_mov_b32 s44, s46
	v_mul_f64 v[102:103], v[139:140], s[44:45]
	v_fma_f64 v[197:198], v[129:130], s[8:9], v[104:105]
	v_add_f64 v[116:117], v[205:206], v[116:117]
	v_mul_f64 v[199:200], v[179:180], s[44:45]
	v_fma_f64 v[205:206], v[177:178], s[8:9], -v[189:190]
	v_add_f64 v[195:196], v[209:210], v[195:196]
	v_fma_f64 v[104:105], v[129:130], s[8:9], -v[104:105]
	v_fma_f64 v[203:204], v[149:150], s[20:21], v[203:204]
	v_add_f64 v[106:107], v[193:194], v[106:107]
	v_add_f64 v[100:101], v[207:208], v[100:101]
	;; [unrolled: 1-line block ×3, first 2 shown]
	v_mul_f64 v[98:99], v[125:126], s[18:19]
	v_fma_f64 v[191:192], v[127:128], s[22:23], v[102:103]
	v_add_f64 v[116:117], v[197:198], v[116:117]
	v_mul_f64 v[193:194], v[173:174], s[18:19]
	v_fma_f64 v[197:198], v[175:176], s[22:23], -v[199:200]
	v_add_f64 v[195:196], v[205:206], v[195:196]
	v_fma_f64 v[102:103], v[127:128], s[22:23], -v[102:103]
	v_fma_f64 v[201:202], v[161:162], s[16:17], v[201:202]
	v_add_f64 v[106:107], v[203:204], v[106:107]
	v_add_f64 v[100:101], v[104:105], v[100:101]
	v_mul_f64 v[94:95], v[123:124], s[42:43]
	v_fma_f64 v[118:119], v[141:142], s[14:15], v[98:99]
	v_add_f64 v[104:105], v[191:192], v[116:117]
	v_mul_f64 v[116:117], v[169:170], s[42:43]
	v_fma_f64 v[191:192], v[171:172], s[14:15], -v[193:194]
	v_add_f64 v[195:196], v[197:198], v[195:196]
	v_fma_f64 v[98:99], v[141:142], s[14:15], -v[98:99]
	v_fma_f64 v[189:190], v[177:178], s[8:9], v[189:190]
	v_add_f64 v[106:107], v[201:202], v[106:107]
	v_add_f64 v[100:101], v[102:103], v[100:101]
	v_fma_f64 v[102:103], v[121:122], s[34:35], v[94:95]
	v_add_f64 v[104:105], v[118:119], v[104:105]
	v_fma_f64 v[118:119], v[167:168], s[34:35], -v[116:117]
	v_add_f64 v[191:192], v[191:192], v[195:196]
	v_fma_f64 v[197:198], v[175:176], s[22:23], v[199:200]
	s_mov_b32 s57, 0x3fe0d888
	v_add_f64 v[106:107], v[189:190], v[106:107]
	v_add_f64 v[98:99], v[98:99], v[100:101]
	v_mul_f64 v[100:101], v[183:184], s[10:11]
	s_mov_b32 s56, s24
	v_fma_f64 v[195:196], v[121:122], s[34:35], -v[94:95]
	v_add_f64 v[94:95], v[90:91], v[88:89]
	v_add_f64 v[92:93], v[92:93], v[96:97]
	v_add_f64 v[90:91], v[102:103], v[104:105]
	v_add_f64 v[88:89], v[118:119], v[191:192]
	v_fma_f64 v[96:97], v[171:172], s[14:15], v[193:194]
	v_add_f64 v[102:103], v[197:198], v[106:107]
	v_mul_f64 v[104:105], v[181:182], s[56:57]
	v_fma_f64 v[106:107], v[167:168], s[34:35], v[116:117]
	v_mul_f64 v[116:117], v[157:158], s[10:11]
	v_fma_f64 v[118:119], v[137:138], s[30:31], v[100:101]
	v_add_f64 v[98:99], v[195:196], v[98:99]
	v_mul_f64 v[195:196], v[155:156], s[56:57]
	s_mov_b32 s49, 0xbfeca52d
	v_add_f64 v[96:97], v[96:97], v[102:103]
	v_mul_f64 v[102:103], v[147:148], s[46:47]
	v_fma_f64 v[193:194], v[133:134], s[16:17], v[104:105]
	v_fma_f64 v[197:198], v[153:154], s[30:31], -v[116:117]
	v_add_f64 v[118:119], v[50:51], v[118:119]
	s_mov_b32 s48, s42
	v_mul_f64 v[199:200], v[145:146], s[48:49]
	v_mul_f64 v[203:204], v[159:160], s[46:47]
	v_fma_f64 v[205:206], v[151:152], s[16:17], -v[195:196]
	v_fma_f64 v[201:202], v[135:136], s[22:23], v[102:103]
	v_mul_f64 v[207:208], v[143:144], s[18:19]
	v_add_f64 v[197:198], v[48:49], v[197:198]
	v_add_f64 v[118:119], v[193:194], v[118:119]
	v_mul_f64 v[211:212], v[163:164], s[48:49]
	v_fma_f64 v[209:210], v[131:132], s[34:35], v[199:200]
	v_fma_f64 v[213:214], v[149:150], s[22:23], -v[203:204]
	v_fma_f64 v[100:101], v[137:138], s[30:31], -v[100:101]
	v_mul_f64 v[215:216], v[165:166], s[18:19]
	v_fma_f64 v[104:105], v[133:134], s[16:17], -v[104:105]
	v_add_f64 v[197:198], v[205:206], v[197:198]
	v_add_f64 v[118:119], v[201:202], v[118:119]
	v_mul_f64 v[201:202], v[139:140], s[50:51]
	v_fma_f64 v[205:206], v[129:130], s[14:15], v[207:208]
	v_fma_f64 v[217:218], v[161:162], s[34:35], -v[211:212]
	v_add_f64 v[100:101], v[50:51], v[100:101]
	v_mul_f64 v[191:192], v[125:126], s[36:37]
	v_fma_f64 v[219:220], v[177:178], s[14:15], -v[215:216]
	v_add_f64 v[197:198], v[213:214], v[197:198]
	v_add_f64 v[118:119], v[209:210], v[118:119]
	v_fma_f64 v[209:210], v[127:128], s[8:9], v[201:202]
	v_mul_f64 v[213:214], v[179:180], s[50:51]
	v_fma_f64 v[102:103], v[135:136], s[22:23], -v[102:103]
	v_fma_f64 v[116:117], v[153:154], s[30:31], v[116:117]
	v_add_f64 v[100:101], v[104:105], v[100:101]
	v_mul_f64 v[189:190], v[123:124], s[28:29]
	v_add_f64 v[104:105], v[217:218], v[197:198]
	v_add_f64 v[118:119], v[205:206], v[118:119]
	v_fma_f64 v[193:194], v[141:142], s[20:21], v[191:192]
	v_mul_f64 v[197:198], v[173:174], s[36:37]
	v_fma_f64 v[205:206], v[175:176], s[8:9], -v[213:214]
	v_fma_f64 v[199:200], v[131:132], s[34:35], -v[199:200]
	v_fma_f64 v[195:196], v[151:152], s[16:17], v[195:196]
	v_add_f64 v[116:117], v[48:49], v[116:117]
	v_add_f64 v[100:101], v[102:103], v[100:101]
	;; [unrolled: 1-line block ×4, first 2 shown]
	v_mul_f64 v[118:119], v[169:170], s[28:29]
	v_fma_f64 v[209:210], v[171:172], s[20:21], -v[197:198]
	v_fma_f64 v[207:208], v[129:130], s[14:15], -v[207:208]
	v_fma_f64 v[203:204], v[149:150], s[22:23], v[203:204]
	v_add_f64 v[116:117], v[195:196], v[116:117]
	v_add_f64 v[100:101], v[199:200], v[100:101]
	;; [unrolled: 1-line block ×3, first 2 shown]
	v_fma_f64 v[195:196], v[121:122], s[26:27], v[189:190]
	v_add_f64 v[104:105], v[193:194], v[104:105]
	v_fma_f64 v[193:194], v[167:168], s[26:27], -v[118:119]
	v_fma_f64 v[199:200], v[127:128], s[8:9], -v[201:202]
	v_fma_f64 v[201:202], v[161:162], s[34:35], v[211:212]
	v_add_f64 v[116:117], v[203:204], v[116:117]
	v_add_f64 v[100:101], v[207:208], v[100:101]
	;; [unrolled: 1-line block ×5, first 2 shown]
	v_fma_f64 v[104:105], v[141:142], s[20:21], -v[191:192]
	v_mul_f64 v[191:192], v[183:184], s[40:41]
	v_fma_f64 v[106:107], v[177:178], s[14:15], v[215:216]
	v_add_f64 v[116:117], v[201:202], v[116:117]
	v_add_f64 v[195:196], v[199:200], v[100:101]
	;; [unrolled: 1-line block ×3, first 2 shown]
	v_mul_f64 v[199:200], v[157:158], s[40:41]
	v_mul_f64 v[201:202], v[181:182], s[18:19]
	v_fma_f64 v[193:194], v[175:176], s[8:9], v[213:214]
	v_fma_f64 v[203:204], v[137:138], s[8:9], v[191:192]
	v_mul_f64 v[209:210], v[159:160], s[52:53]
	v_add_f64 v[106:107], v[106:107], v[116:117]
	v_add_f64 v[104:105], v[104:105], v[195:196]
	v_fma_f64 v[116:117], v[171:172], s[20:21], v[197:198]
	v_mul_f64 v[195:196], v[147:148], s[52:53]
	v_mul_f64 v[197:198], v[155:156], s[18:19]
	v_fma_f64 v[205:206], v[153:154], s[8:9], -v[199:200]
	v_fma_f64 v[207:208], v[133:134], s[14:15], v[201:202]
	v_add_f64 v[203:204], v[50:51], v[203:204]
	v_add_f64 v[106:107], v[193:194], v[106:107]
	v_fma_f64 v[193:194], v[167:168], s[26:27], v[118:119]
	v_mul_f64 v[118:119], v[145:146], s[38:39]
	v_fma_f64 v[213:214], v[135:136], s[30:31], v[195:196]
	v_fma_f64 v[211:212], v[151:152], s[14:15], -v[197:198]
	v_add_f64 v[205:206], v[48:49], v[205:206]
	v_fma_f64 v[191:192], v[137:138], s[8:9], -v[191:192]
	v_add_f64 v[203:204], v[207:208], v[203:204]
	v_add_f64 v[106:107], v[116:117], v[106:107]
	v_mul_f64 v[116:117], v[143:144], s[48:49]
	v_mul_f64 v[207:208], v[163:164], s[38:39]
	v_fma_f64 v[215:216], v[149:150], s[30:31], -v[209:210]
	v_fma_f64 v[201:202], v[133:134], s[14:15], -v[201:202]
	v_add_f64 v[205:206], v[211:212], v[205:206]
	v_fma_f64 v[211:212], v[131:132], s[20:21], v[118:119]
	v_add_f64 v[203:204], v[213:214], v[203:204]
	v_add_f64 v[191:192], v[50:51], v[191:192]
	v_mul_f64 v[213:214], v[139:140], s[24:25]
	v_mul_f64 v[217:218], v[165:166], s[48:49]
	v_fma_f64 v[219:220], v[161:162], s[20:21], -v[207:208]
	v_fma_f64 v[195:196], v[135:136], s[30:31], -v[195:196]
	v_add_f64 v[205:206], v[215:216], v[205:206]
	v_fma_f64 v[215:216], v[129:130], s[34:35], v[116:117]
	;; [unrolled: 8-line block ×3, first 2 shown]
	v_add_f64 v[203:204], v[215:216], v[203:204]
	v_add_f64 v[191:192], v[195:196], v[191:192]
	v_mul_f64 v[215:216], v[123:124], s[46:47]
	v_mul_f64 v[195:196], v[173:174], s[54:55]
	v_fma_f64 v[223:224], v[175:176], s[16:17], -v[201:202]
	v_fma_f64 v[199:200], v[153:154], s[8:9], v[199:200]
	v_add_f64 v[205:206], v[221:222], v[205:206]
	v_fma_f64 v[221:222], v[141:142], s[26:27], v[211:212]
	v_add_f64 v[203:204], v[219:220], v[203:204]
	v_fma_f64 v[116:117], v[129:130], s[34:35], -v[116:117]
	v_add_f64 v[118:119], v[118:119], v[191:192]
	v_fma_f64 v[189:190], v[121:122], s[26:27], -v[189:190]
	v_mul_f64 v[191:192], v[169:170], s[46:47]
	v_fma_f64 v[219:220], v[171:172], s[26:27], -v[195:196]
	v_add_f64 v[205:206], v[223:224], v[205:206]
	v_fma_f64 v[223:224], v[121:122], s[22:23], v[215:216]
	v_fma_f64 v[197:198], v[151:152], s[14:15], v[197:198]
	v_add_f64 v[199:200], v[48:49], v[199:200]
	v_fma_f64 v[213:214], v[127:128], s[16:17], -v[213:214]
	v_add_f64 v[116:117], v[116:117], v[118:119]
	v_add_f64 v[203:204], v[221:222], v[203:204]
	v_fma_f64 v[221:222], v[167:168], s[22:23], -v[191:192]
	v_add_f64 v[205:206], v[219:220], v[205:206]
	v_add_f64 v[118:119], v[189:190], v[104:105]
	v_fma_f64 v[189:190], v[149:150], s[30:31], v[209:210]
	v_add_f64 v[197:198], v[197:198], v[199:200]
	v_fma_f64 v[199:200], v[141:142], s[26:27], -v[211:212]
	v_add_f64 v[209:210], v[213:214], v[116:117]
	v_add_f64 v[116:117], v[193:194], v[106:107]
	;; [unrolled: 1-line block ×3, first 2 shown]
	v_mul_f64 v[203:204], v[183:184], s[48:49]
	v_add_f64 v[104:105], v[221:222], v[205:206]
	v_fma_f64 v[193:194], v[161:162], s[20:21], v[207:208]
	v_add_f64 v[189:190], v[189:190], v[197:198]
	v_mul_f64 v[205:206], v[157:158], s[48:49]
	v_add_f64 v[199:200], v[199:200], v[209:210]
	v_mul_f64 v[209:210], v[181:182], s[28:29]
	v_add_f64 v[54:55], v[54:55], v[50:51]
	v_fma_f64 v[211:212], v[137:138], s[34:35], v[203:204]
	v_add_f64 v[52:53], v[52:53], v[48:49]
	s_mov_b32 s51, 0x3fc7851a
	s_mov_b32 s50, s18
	v_fma_f64 v[197:198], v[121:122], s[22:23], -v[215:216]
	v_fma_f64 v[207:208], v[177:178], s[34:35], v[217:218]
	v_add_f64 v[189:190], v[193:194], v[189:190]
	v_mul_f64 v[213:214], v[155:156], s[28:29]
	v_fma_f64 v[193:194], v[153:154], s[34:35], -v[205:206]
	v_mul_f64 v[215:216], v[147:148], s[50:51]
	v_fma_f64 v[217:218], v[133:134], s[26:27], v[209:210]
	v_add_f64 v[211:212], v[50:51], v[211:212]
	v_add_f64 v[54:55], v[58:59], v[54:55]
	;; [unrolled: 1-line block ×3, first 2 shown]
	v_fma_f64 v[201:202], v[175:176], s[16:17], v[201:202]
	v_add_f64 v[189:190], v[207:208], v[189:190]
	v_mul_f64 v[207:208], v[159:160], s[50:51]
	v_fma_f64 v[219:220], v[151:152], s[26:27], -v[213:214]
	v_add_f64 v[193:194], v[48:49], v[193:194]
	v_mul_f64 v[221:222], v[145:146], s[52:53]
	v_fma_f64 v[223:224], v[135:136], s[14:15], v[215:216]
	v_add_f64 v[211:212], v[217:218], v[211:212]
	v_fma_f64 v[203:204], v[137:138], s[34:35], -v[203:204]
	v_add_f64 v[54:55], v[62:63], v[54:55]
	v_add_f64 v[52:53], v[60:61], v[52:53]
	v_add_f64 v[189:190], v[201:202], v[189:190]
	v_mul_f64 v[201:202], v[163:164], s[52:53]
	v_fma_f64 v[217:218], v[149:150], s[14:15], -v[207:208]
	v_add_f64 v[193:194], v[219:220], v[193:194]
	v_mul_f64 v[219:220], v[143:144], s[46:47]
	v_fma_f64 v[225:226], v[131:132], s[30:31], v[221:222]
	v_add_f64 v[211:212], v[223:224], v[211:212]
	v_fma_f64 v[209:210], v[133:134], s[26:27], -v[209:210]
	v_add_f64 v[203:204], v[50:51], v[203:204]
	v_add_f64 v[54:55], v[66:67], v[54:55]
	;; [unrolled: 10-line block ×3, first 2 shown]
	v_add_f64 v[52:53], v[16:17], v[52:53]
	v_fma_f64 v[231:232], v[177:178], s[22:23], -v[223:224]
	v_add_f64 v[193:194], v[227:228], v[193:194]
	v_mul_f64 v[209:210], v[125:126], s[40:41]
	v_fma_f64 v[227:228], v[127:128], s[20:21], v[217:218]
	v_add_f64 v[211:212], v[229:230], v[211:212]
	v_fma_f64 v[221:222], v[131:132], s[30:31], -v[221:222]
	v_add_f64 v[203:204], v[215:216], v[203:204]
	v_add_f64 v[18:19], v[26:27], v[18:19]
	;; [unrolled: 1-line block ×3, first 2 shown]
	v_fma_f64 v[195:196], v[171:172], s[26:27], v[195:196]
	v_mul_f64 v[225:226], v[179:180], s[36:37]
	v_add_f64 v[193:194], v[231:232], v[193:194]
	v_mul_f64 v[215:216], v[123:124], s[24:25]
	v_fma_f64 v[231:232], v[141:142], s[8:9], v[209:210]
	v_add_f64 v[211:212], v[227:228], v[211:212]
	v_fma_f64 v[219:220], v[129:130], s[22:23], -v[219:220]
	v_add_f64 v[203:204], v[221:222], v[203:204]
	v_add_f64 v[18:19], v[82:83], v[18:19]
	;; [unrolled: 1-line block ×3, first 2 shown]
	v_mul_f64 v[229:230], v[173:174], s[40:41]
	v_fma_f64 v[233:234], v[175:176], s[20:21], -v[225:226]
	v_fma_f64 v[221:222], v[167:168], s[22:23], v[191:192]
	v_add_f64 v[189:190], v[195:196], v[189:190]
	v_fma_f64 v[195:196], v[121:122], s[16:17], v[215:216]
	v_add_f64 v[211:212], v[231:232], v[211:212]
	v_fma_f64 v[217:218], v[127:128], s[20:21], -v[217:218]
	v_add_f64 v[203:204], v[219:220], v[203:204]
	v_add_f64 v[191:192], v[197:198], v[199:200]
	v_fma_f64 v[197:198], v[153:154], s[34:35], v[205:206]
	v_add_f64 v[18:19], v[110:111], v[18:19]
	v_add_f64 v[24:25], v[108:109], v[24:25]
	v_mul_f64 v[227:228], v[169:170], s[24:25]
	v_fma_f64 v[235:236], v[171:172], s[8:9], -v[229:230]
	v_add_f64 v[193:194], v[233:234], v[193:194]
	v_add_f64 v[195:196], v[195:196], v[211:212]
	v_fma_f64 v[199:200], v[141:142], s[8:9], -v[209:210]
	v_mul_f64 v[205:206], v[183:184], s[44:45]
	v_add_f64 v[203:204], v[217:218], v[203:204]
	v_fma_f64 v[209:210], v[151:152], s[26:27], v[213:214]
	v_mul_f64 v[211:212], v[157:158], s[44:45]
	v_add_f64 v[197:198], v[48:49], v[197:198]
	v_add_f64 v[18:19], v[114:115], v[18:19]
	;; [unrolled: 1-line block ×3, first 2 shown]
	v_fma_f64 v[231:232], v[167:168], s[16:17], -v[227:228]
	v_add_f64 v[193:194], v[235:236], v[193:194]
	v_fma_f64 v[213:214], v[121:122], s[16:17], -v[215:216]
	v_mul_f64 v[215:216], v[181:182], s[40:41]
	v_fma_f64 v[217:218], v[137:138], s[22:23], v[205:206]
	v_add_f64 v[199:200], v[199:200], v[203:204]
	v_fma_f64 v[203:204], v[149:150], s[14:15], v[207:208]
	v_mul_f64 v[207:208], v[155:156], s[40:41]
	v_fma_f64 v[219:220], v[153:154], s[22:23], -v[211:212]
	v_add_f64 v[197:198], v[209:210], v[197:198]
	v_add_f64 v[18:19], v[86:87], v[18:19]
	;; [unrolled: 1-line block ×5, first 2 shown]
	v_fma_f64 v[221:222], v[133:134], s[8:9], v[215:216]
	v_add_f64 v[217:218], v[50:51], v[217:218]
	v_fma_f64 v[201:202], v[161:162], s[30:31], v[201:202]
	v_mul_f64 v[231:232], v[159:160], s[28:29]
	v_fma_f64 v[233:234], v[151:152], s[8:9], -v[207:208]
	v_add_f64 v[219:220], v[48:49], v[219:220]
	v_add_f64 v[197:198], v[203:204], v[197:198]
	v_fma_f64 v[205:206], v[137:138], s[22:23], -v[205:206]
	v_add_f64 v[18:19], v[34:35], v[18:19]
	v_add_f64 v[24:25], v[32:33], v[24:25]
	v_mul_f64 v[209:210], v[147:148], s[28:29]
	v_add_f64 v[217:218], v[221:222], v[217:218]
	v_fma_f64 v[221:222], v[177:178], s[22:23], v[223:224]
	v_mul_f64 v[223:224], v[163:164], s[18:19]
	v_fma_f64 v[237:238], v[149:150], s[26:27], -v[231:232]
	v_add_f64 v[219:220], v[233:234], v[219:220]
	v_add_f64 v[197:198], v[201:202], v[197:198]
	v_fma_f64 v[215:216], v[133:134], s[8:9], -v[215:216]
	v_add_f64 v[205:206], v[50:51], v[205:206]
	v_add_f64 v[18:19], v[22:23], v[18:19]
	;; [unrolled: 1-line block ×3, first 2 shown]
	v_mul_f64 v[203:204], v[145:146], s[18:19]
	v_fma_f64 v[235:236], v[135:136], s[26:27], v[209:210]
	v_fma_f64 v[239:240], v[161:162], s[14:15], -v[223:224]
	v_add_f64 v[219:220], v[237:238], v[219:220]
	v_add_f64 v[197:198], v[221:222], v[197:198]
	v_mul_f64 v[221:222], v[139:140], s[52:53]
	v_fma_f64 v[211:212], v[153:154], s[22:23], v[211:212]
	v_fma_f64 v[209:210], v[135:136], s[26:27], -v[209:210]
	v_mul_f64 v[183:184], v[183:184], s[36:37]
	v_add_f64 v[205:206], v[215:216], v[205:206]
	v_add_f64 v[14:15], v[14:15], v[18:19]
	;; [unrolled: 1-line block ×3, first 2 shown]
	v_mul_f64 v[201:202], v[143:144], s[56:57]
	v_fma_f64 v[233:234], v[131:132], s[14:15], v[203:204]
	v_add_f64 v[219:220], v[239:240], v[219:220]
	v_fma_f64 v[239:240], v[127:128], s[30:31], v[221:222]
	v_fma_f64 v[215:216], v[127:128], s[30:31], -v[221:222]
	v_fma_f64 v[207:208], v[151:152], s[8:9], v[207:208]
	v_add_f64 v[211:212], v[48:49], v[211:212]
	v_fma_f64 v[203:204], v[131:132], s[14:15], -v[203:204]
	v_mul_f64 v[181:182], v[181:182], s[44:45]
	v_fma_f64 v[221:222], v[137:138], s[20:21], v[183:184]
	v_add_f64 v[205:206], v[209:210], v[205:206]
	v_add_f64 v[10:11], v[14:15], v[10:11]
	;; [unrolled: 1-line block ×4, first 2 shown]
	v_fma_f64 v[225:226], v[175:176], s[20:21], v[225:226]
	v_mul_f64 v[235:236], v[165:166], s[56:57]
	v_fma_f64 v[237:238], v[129:130], s[16:17], v[201:202]
	v_fma_f64 v[201:202], v[129:130], s[16:17], -v[201:202]
	v_fma_f64 v[209:210], v[149:150], s[26:27], v[231:232]
	v_add_f64 v[207:208], v[207:208], v[211:212]
	v_mul_f64 v[147:148], v[147:148], s[48:49]
	v_fma_f64 v[211:212], v[133:134], s[22:23], v[181:182]
	v_add_f64 v[221:222], v[50:51], v[221:222]
	v_add_f64 v[203:204], v[203:204], v[205:206]
	;; [unrolled: 1-line block ×4, first 2 shown]
	v_fma_f64 v[241:242], v[177:178], s[16:17], -v[235:236]
	v_add_f64 v[197:198], v[225:226], v[197:198]
	v_mul_f64 v[225:226], v[125:126], s[42:43]
	v_fma_f64 v[205:206], v[161:162], s[14:15], v[223:224]
	v_add_f64 v[56:57], v[209:210], v[207:208]
	v_mul_f64 v[58:59], v[145:146], s[40:41]
	v_fma_f64 v[145:146], v[135:136], s[34:35], v[147:148]
	v_add_f64 v[207:208], v[211:212], v[221:222]
	v_add_f64 v[201:202], v[201:202], v[203:204]
	;; [unrolled: 1-line block ×4, first 2 shown]
	buffer_load_dword v0, off, s[60:63], 0 offset:4 ; 4-byte Folded Reload
	v_add_f64 v[217:218], v[233:234], v[217:218]
	v_mul_f64 v[233:234], v[179:180], s[52:53]
	v_add_f64 v[219:220], v[241:242], v[219:220]
	v_fma_f64 v[241:242], v[141:142], s[34:35], v[225:226]
	v_fma_f64 v[225:226], v[141:142], s[34:35], -v[225:226]
	v_fma_f64 v[203:204], v[177:178], s[16:17], v[235:236]
	v_add_f64 v[56:57], v[205:206], v[56:57]
	v_mul_f64 v[60:61], v[143:144], s[10:11]
	v_add_f64 v[143:144], v[145:146], v[207:208]
	v_add_f64 v[145:146], v[215:216], v[201:202]
	v_mul_f64 v[80:81], v[157:158], s[36:37]
	v_fma_f64 v[229:230], v[171:172], s[8:9], v[229:230]
	v_add_f64 v[217:218], v[237:238], v[217:218]
	v_mul_f64 v[237:238], v[173:174], s[42:43]
	v_fma_f64 v[62:63], v[131:132], s[8:9], v[58:59]
	v_fma_f64 v[201:202], v[175:176], s[30:31], v[233:234]
	v_add_f64 v[56:57], v[203:204], v[56:57]
	v_mul_f64 v[64:65], v[139:140], s[28:29]
	v_add_f64 v[139:140], v[225:226], v[145:146]
	v_fma_f64 v[137:138], v[137:138], s[20:21], -v[183:184]
	v_mul_f64 v[145:146], v[155:156], s[44:45]
	v_fma_f64 v[108:109], v[153:154], s[20:21], v[80:81]
	v_fma_f64 v[80:81], v[153:154], s[20:21], -v[80:81]
	v_add_f64 v[197:198], v[229:230], v[197:198]
	v_mul_f64 v[229:230], v[123:124], s[38:39]
	v_add_f64 v[62:63], v[62:63], v[143:144]
	v_fma_f64 v[143:144], v[171:172], s[34:35], v[237:238]
	v_add_f64 v[54:55], v[201:202], v[56:57]
	v_mul_f64 v[110:111], v[159:160], s[48:49]
	v_fma_f64 v[133:134], v[133:134], s[22:23], -v[181:182]
	v_add_f64 v[50:51], v[50:51], v[137:138]
	v_fma_f64 v[137:138], v[151:152], s[22:23], v[145:146]
	v_add_f64 v[108:109], v[48:49], v[108:109]
	v_fma_f64 v[112:113], v[151:152], s[22:23], -v[145:146]
	v_add_f64 v[48:49], v[48:49], v[80:81]
	v_add_f64 v[199:200], v[213:214], v[199:200]
	v_fma_f64 v[213:214], v[121:122], s[20:21], v[229:230]
	v_fma_f64 v[229:230], v[121:122], s[20:21], -v[229:230]
	v_add_f64 v[26:27], v[143:144], v[54:55]
	v_mul_f64 v[143:144], v[163:164], s[40:41]
	v_fma_f64 v[80:81], v[135:136], s[34:35], -v[147:148]
	v_add_f64 v[50:51], v[133:134], v[50:51]
	v_fma_f64 v[114:115], v[149:150], s[34:35], v[110:111]
	v_add_f64 v[84:85], v[137:138], v[108:109]
	v_fma_f64 v[86:87], v[149:150], s[34:35], -v[110:111]
	v_add_f64 v[48:49], v[112:113], v[48:49]
	v_fma_f64 v[66:67], v[129:130], s[30:31], v[60:61]
	v_add_f64 v[16:17], v[229:230], v[139:140]
	v_mul_f64 v[139:140], v[165:166], s[10:11]
	v_fma_f64 v[58:59], v[131:132], s[8:9], -v[58:59]
	v_add_f64 v[50:51], v[80:81], v[50:51]
	v_fma_f64 v[80:81], v[161:162], s[8:9], v[143:144]
	v_add_f64 v[32:33], v[114:115], v[84:85]
	v_fma_f64 v[34:35], v[161:162], s[8:9], -v[143:144]
	v_add_f64 v[48:49], v[86:87], v[48:49]
	v_mul_f64 v[56:57], v[125:126], s[24:25]
	v_fma_f64 v[125:126], v[127:128], s[26:27], v[64:65]
	v_add_f64 v[62:63], v[66:67], v[62:63]
	v_mul_f64 v[82:83], v[179:180], s[28:29]
	v_fma_f64 v[60:61], v[129:130], s[30:31], -v[60:61]
	v_add_f64 v[50:51], v[58:59], v[50:51]
	v_fma_f64 v[58:59], v[177:178], s[30:31], v[139:140]
	v_add_f64 v[22:23], v[80:81], v[32:33]
	v_fma_f64 v[24:25], v[177:178], s[30:31], -v[139:140]
	v_add_f64 v[32:33], v[34:35], v[48:49]
	v_add_f64 v[62:63], v[125:126], v[62:63]
	v_mul_f64 v[125:126], v[173:174], s[24:25]
	v_fma_f64 v[34:35], v[127:128], s[26:27], -v[64:65]
	v_add_f64 v[48:49], v[60:61], v[50:51]
	v_fma_f64 v[50:51], v[175:176], s[26:27], v[82:83]
	v_add_f64 v[18:19], v[58:59], v[22:23]
	v_fma_f64 v[243:244], v[175:176], s[30:31], -v[233:234]
	v_fma_f64 v[20:21], v[175:176], s[26:27], -v[82:83]
	v_add_f64 v[22:23], v[24:25], v[32:33]
	v_mul_f64 v[52:53], v[123:124], s[18:19]
	v_mul_f64 v[123:124], v[169:170], s[18:19]
	v_fma_f64 v[24:25], v[141:142], s[16:17], -v[56:57]
	v_add_f64 v[32:33], v[34:35], v[48:49]
	v_fma_f64 v[34:35], v[171:172], s[16:17], v[125:126]
	v_add_f64 v[12:13], v[50:51], v[18:19]
	v_add_f64 v[217:218], v[239:240], v[217:218]
	v_mul_f64 v[239:240], v[169:170], s[38:39]
	v_fma_f64 v[227:228], v[167:168], s[16:17], v[227:228]
	v_fma_f64 v[245:246], v[171:172], s[34:35], -v[237:238]
	v_add_f64 v[219:220], v[243:244], v[219:220]
	v_fma_f64 v[54:55], v[141:142], s[16:17], v[56:57]
	v_fma_f64 v[14:15], v[171:172], s[16:17], -v[125:126]
	v_add_f64 v[18:19], v[20:21], v[22:23]
	v_fma_f64 v[20:21], v[121:122], s[14:15], -v[52:53]
	v_add_f64 v[22:23], v[24:25], v[32:33]
	v_fma_f64 v[24:25], v[167:168], s[14:15], v[123:124]
	v_add_f64 v[12:13], v[34:35], v[12:13]
	v_fma_f64 v[66:67], v[167:168], s[20:21], v[239:240]
	v_add_f64 v[197:198], v[227:228], v[197:198]
	v_add_f64 v[217:218], v[241:242], v[217:218]
	v_fma_f64 v[227:228], v[167:168], s[20:21], -v[239:240]
	v_add_f64 v[219:220], v[245:246], v[219:220]
	v_fma_f64 v[32:33], v[121:122], s[14:15], v[52:53]
	v_add_f64 v[34:35], v[54:55], v[62:63]
	v_fma_f64 v[48:49], v[167:168], s[14:15], -v[123:124]
	v_add_f64 v[18:19], v[14:15], v[18:19]
	v_add_f64 v[4:5], v[20:21], v[22:23]
	;; [unrolled: 1-line block ×4, first 2 shown]
	s_waitcnt vmcnt(0)
	v_lshl_add_u32 v0, v186, 4, v0
	v_add_f64 v[12:13], v[213:214], v[217:218]
	v_add_f64 v[10:11], v[227:228], v[219:220]
	v_add_f64 v[20:21], v[32:33], v[34:35]
	v_add_f64 v[18:19], v[48:49], v[18:19]
	ds_write_b128 v0, v[6:9]
	ds_write_b128 v0, v[2:5] offset:16
	ds_write_b128 v0, v[14:17] offset:32
	;; [unrolled: 1-line block ×16, first 2 shown]
.LBB0_13:
	s_or_b64 exec, exec, s[4:5]
	s_waitcnt lgkmcnt(0)
	s_barrier
	ds_read_b128 v[0:3], v188 offset:544
	ds_read_b128 v[4:7], v188 offset:816
	;; [unrolled: 1-line block ×4, first 2 shown]
	s_mov_b32 s4, 0x134454ff
	s_waitcnt lgkmcnt(3)
	v_mul_f64 v[16:17], v[42:43], v[2:3]
	s_waitcnt lgkmcnt(2)
	v_mul_f64 v[18:19], v[38:39], v[6:7]
	;; [unrolled: 2-line block ×3, first 2 shown]
	v_mul_f64 v[22:23], v[46:47], v[8:9]
	s_mov_b32 s5, 0xbfee6f0e
	s_mov_b32 s8, 0x4755a5e
	;; [unrolled: 1-line block ×4, first 2 shown]
	v_fma_f64 v[26:27], v[40:41], v[0:1], v[16:17]
	v_fma_f64 v[32:33], v[36:37], v[4:5], v[18:19]
	ds_read_b128 v[16:19], v188
	s_waitcnt lgkmcnt(1)
	v_mul_f64 v[24:25], v[30:31], v[12:13]
	v_mul_f64 v[0:1], v[42:43], v[0:1]
	;; [unrolled: 1-line block ×4, first 2 shown]
	v_fma_f64 v[8:9], v[44:45], v[8:9], v[20:21]
	v_fma_f64 v[10:11], v[44:45], v[10:11], -v[22:23]
	v_add_f64 v[20:21], v[26:27], v[32:33]
	s_mov_b32 s15, 0x3fee6f0e
	v_fma_f64 v[14:15], v[28:29], v[14:15], -v[24:25]
	v_fma_f64 v[2:3], v[40:41], v[2:3], -v[0:1]
	;; [unrolled: 1-line block ×3, first 2 shown]
	v_fma_f64 v[12:13], v[28:29], v[12:13], v[30:31]
	s_waitcnt lgkmcnt(0)
	v_add_f64 v[0:1], v[16:17], v[8:9]
	v_add_f64 v[24:25], v[8:9], -v[26:27]
	v_fma_f64 v[4:5], v[20:21], -0.5, v[16:17]
	s_mov_b32 s14, s4
	v_add_f64 v[22:23], v[10:11], -v[14:15]
	s_mov_b32 s11, 0x3fd3c6ef
	v_add_f64 v[20:21], v[2:3], -v[6:7]
	v_add_f64 v[28:29], v[12:13], -v[32:33]
	v_add_f64 v[30:31], v[8:9], v[12:13]
	v_add_f64 v[0:1], v[0:1], v[26:27]
	;; [unrolled: 1-line block ×3, first 2 shown]
	v_add_f64 v[40:41], v[32:33], -v[12:13]
	v_fma_f64 v[34:35], v[22:23], s[4:5], v[4:5]
	v_fma_f64 v[36:37], v[22:23], s[14:15], v[4:5]
	s_mov_b32 s17, 0x3fe2cf23
	v_add_f64 v[24:25], v[24:25], v[28:29]
	v_fma_f64 v[16:17], v[30:31], -0.5, v[16:17]
	v_add_f64 v[30:31], v[2:3], v[6:7]
	v_add_f64 v[0:1], v[0:1], v[32:33]
	s_mov_b32 s16, s8
	v_fma_f64 v[28:29], v[20:21], s[8:9], v[34:35]
	v_add_f64 v[34:35], v[10:11], v[14:15]
	v_fma_f64 v[38:39], v[20:21], s[14:15], v[16:17]
	v_fma_f64 v[30:31], v[30:31], -0.5, v[18:19]
	v_add_f64 v[0:1], v[0:1], v[12:13]
	v_fma_f64 v[16:17], v[20:21], s[4:5], v[16:17]
	v_fma_f64 v[4:5], v[24:25], s[10:11], v[28:29]
	v_add_f64 v[28:29], v[26:27], -v[8:9]
	v_add_f64 v[8:9], v[8:9], -v[12:13]
	;; [unrolled: 1-line block ×3, first 2 shown]
	v_fma_f64 v[18:19], v[34:35], -0.5, v[18:19]
	v_fma_f64 v[12:13], v[20:21], s[16:17], v[36:37]
	v_add_f64 v[20:21], v[42:43], v[2:3]
	v_fma_f64 v[32:33], v[22:23], s[8:9], v[38:39]
	v_add_f64 v[36:37], v[10:11], -v[2:3]
	v_add_f64 v[38:39], v[14:15], -v[6:7]
	v_fma_f64 v[34:35], v[8:9], s[14:15], v[30:31]
	v_add_f64 v[28:29], v[28:29], v[40:41]
	v_fma_f64 v[40:41], v[26:27], s[4:5], v[18:19]
	v_add_f64 v[2:3], v[2:3], -v[10:11]
	v_add_f64 v[10:11], v[6:7], -v[14:15]
	v_fma_f64 v[18:19], v[26:27], s[14:15], v[18:19]
	v_fma_f64 v[30:31], v[8:9], s[4:5], v[30:31]
	v_add_f64 v[6:7], v[20:21], v[6:7]
	v_fma_f64 v[16:17], v[22:23], s[16:17], v[16:17]
	v_fma_f64 v[20:21], v[26:27], s[16:17], v[34:35]
	v_add_f64 v[22:23], v[36:37], v[38:39]
	v_fma_f64 v[34:35], v[8:9], s[16:17], v[40:41]
	v_add_f64 v[10:11], v[2:3], v[10:11]
	v_fma_f64 v[18:19], v[8:9], s[8:9], v[18:19]
	v_fma_f64 v[26:27], v[26:27], s[8:9], v[30:31]
	v_add_f64 v[2:3], v[6:7], v[14:15]
	v_fma_f64 v[8:9], v[24:25], s[10:11], v[12:13]
	v_fma_f64 v[12:13], v[28:29], s[10:11], v[32:33]
	v_fma_f64 v[6:7], v[22:23], s[10:11], v[20:21]
	v_fma_f64 v[16:17], v[28:29], s[10:11], v[16:17]
	v_fma_f64 v[14:15], v[10:11], s[10:11], v[34:35]
	v_fma_f64 v[18:19], v[10:11], s[10:11], v[18:19]
	v_fma_f64 v[10:11], v[22:23], s[10:11], v[26:27]
	ds_write_b128 v187, v[0:3]
	ds_write_b128 v187, v[4:7] offset:272
	ds_write_b128 v187, v[12:15] offset:544
	;; [unrolled: 1-line block ×4, first 2 shown]
	s_waitcnt lgkmcnt(0)
	s_barrier
	s_and_b64 exec, exec, vcc
	s_cbranch_execz .LBB0_15
; %bb.14:
	global_load_dwordx4 v[3:6], v185, s[6:7]
	buffer_load_dword v2, off, s[60:63], 0  ; 4-byte Folded Reload
	ds_read_b128 v[7:10], v187
	v_mad_u64_u32 v[0:1], s[4:5], s2, v120, 0
	v_mad_u64_u32 v[15:16], s[4:5], s0, v255, 0
	s_mul_i32 s5, s1, 0x50
	s_mul_hi_u32 s8, s0, 0x50
	s_mul_i32 s4, s0, 0x50
	s_add_i32 s5, s8, s5
	s_waitcnt vmcnt(1) lgkmcnt(0)
	v_mul_f64 v[17:18], v[9:10], v[5:6]
	v_mul_f64 v[5:6], v[7:8], v[5:6]
	s_waitcnt vmcnt(0)
	v_lshl_add_u32 v2, v2, 4, v185
	v_mad_u64_u32 v[19:20], s[2:3], s3, v120, v[1:2]
	ds_read_b128 v[11:14], v2 offset:80
	v_mov_b32_e32 v1, v19
	v_fma_f64 v[7:8], v[7:8], v[3:4], v[17:18]
	v_fma_f64 v[5:6], v[3:4], v[9:10], -v[5:6]
	v_mad_u64_u32 v[20:21], s[2:3], s1, v255, v[16:17]
	s_mov_b32 s2, 0x18181818
	s_mov_b32 s3, 0x3f881818
	v_lshlrev_b64 v[0:1], 4, v[0:1]
	v_mov_b32_e32 v16, v20
	v_mul_f64 v[3:4], v[7:8], s[2:3]
	v_mul_f64 v[5:6], v[5:6], s[2:3]
	v_mov_b32_e32 v17, s13
	v_lshlrev_b64 v[9:10], 4, v[15:16]
	v_add_co_u32_e32 v0, vcc, s12, v0
	v_addc_co_u32_e32 v1, vcc, v17, v1, vcc
	v_add_co_u32_e32 v7, vcc, v0, v9
	v_addc_co_u32_e32 v8, vcc, v1, v10, vcc
	global_store_dwordx4 v[7:8], v[3:6], off
	global_load_dwordx4 v[3:6], v185, s[6:7] offset:80
	v_add_co_u32_e32 v15, vcc, s4, v7
	v_or_b32_e32 v21, 40, v255
	v_mad_u64_u32 v[19:20], s[8:9], s0, v21, 0
	s_waitcnt vmcnt(0) lgkmcnt(0)
	v_mul_f64 v[9:10], v[13:14], v[5:6]
	v_mul_f64 v[5:6], v[11:12], v[5:6]
	v_fma_f64 v[9:10], v[11:12], v[3:4], v[9:10]
	v_fma_f64 v[5:6], v[3:4], v[13:14], -v[5:6]
	v_mul_f64 v[3:4], v[9:10], s[2:3]
	v_mul_f64 v[5:6], v[5:6], s[2:3]
	v_mov_b32_e32 v9, s5
	v_addc_co_u32_e32 v16, vcc, v8, v9, vcc
	global_store_dwordx4 v[15:16], v[3:6], off
	global_load_dwordx4 v[3:6], v185, s[6:7] offset:160
	ds_read_b128 v[7:10], v2 offset:160
	ds_read_b128 v[11:14], v2 offset:240
	s_waitcnt vmcnt(0) lgkmcnt(1)
	v_mul_f64 v[17:18], v[9:10], v[5:6]
	v_mul_f64 v[5:6], v[7:8], v[5:6]
	v_fma_f64 v[7:8], v[7:8], v[3:4], v[17:18]
	v_fma_f64 v[5:6], v[3:4], v[9:10], -v[5:6]
	v_mul_f64 v[3:4], v[7:8], s[2:3]
	v_mul_f64 v[5:6], v[5:6], s[2:3]
	v_mov_b32_e32 v8, s5
	v_add_co_u32_e32 v7, vcc, s4, v15
	v_addc_co_u32_e32 v8, vcc, v16, v8, vcc
	v_add_co_u32_e32 v15, vcc, s4, v7
	global_store_dwordx4 v[7:8], v[3:6], off
	global_load_dwordx4 v[3:6], v185, s[6:7] offset:240
	s_waitcnt vmcnt(0) lgkmcnt(0)
	v_mul_f64 v[9:10], v[13:14], v[5:6]
	v_mul_f64 v[5:6], v[11:12], v[5:6]
	v_fma_f64 v[9:10], v[11:12], v[3:4], v[9:10]
	v_fma_f64 v[5:6], v[3:4], v[13:14], -v[5:6]
	v_mul_f64 v[3:4], v[9:10], s[2:3]
	v_mul_f64 v[5:6], v[5:6], s[2:3]
	v_mov_b32_e32 v9, s5
	v_addc_co_u32_e32 v16, vcc, v8, v9, vcc
	global_store_dwordx4 v[15:16], v[3:6], off
	global_load_dwordx4 v[3:6], v185, s[6:7] offset:320
	ds_read_b128 v[7:10], v2 offset:320
	ds_read_b128 v[11:14], v2 offset:400
	s_waitcnt vmcnt(0) lgkmcnt(1)
	v_mul_f64 v[17:18], v[9:10], v[5:6]
	v_mul_f64 v[5:6], v[7:8], v[5:6]
	v_fma_f64 v[7:8], v[7:8], v[3:4], v[17:18]
	v_fma_f64 v[5:6], v[3:4], v[9:10], -v[5:6]
	v_mul_f64 v[3:4], v[7:8], s[2:3]
	v_mul_f64 v[5:6], v[5:6], s[2:3]
	v_mov_b32_e32 v8, s5
	v_add_co_u32_e32 v7, vcc, s4, v15
	v_addc_co_u32_e32 v8, vcc, v16, v8, vcc
	v_add_co_u32_e32 v15, vcc, s4, v7
	global_store_dwordx4 v[7:8], v[3:6], off
	global_load_dwordx4 v[3:6], v185, s[6:7] offset:400
	;; [unrolled: 26-line block ×3, first 2 shown]
	s_waitcnt vmcnt(0) lgkmcnt(0)
	v_mul_f64 v[9:10], v[13:14], v[5:6]
	v_mul_f64 v[5:6], v[11:12], v[5:6]
	v_fma_f64 v[9:10], v[11:12], v[3:4], v[9:10]
	v_fma_f64 v[5:6], v[3:4], v[13:14], -v[5:6]
	v_mul_f64 v[3:4], v[9:10], s[2:3]
	v_mul_f64 v[5:6], v[5:6], s[2:3]
	v_mov_b32_e32 v9, s5
	v_addc_co_u32_e32 v16, vcc, v8, v9, vcc
	global_store_dwordx4 v[15:16], v[3:6], off
	global_load_dwordx4 v[3:6], v185, s[6:7] offset:640
	ds_read_b128 v[7:10], v2 offset:640
	ds_read_b128 v[11:14], v2 offset:720
	s_waitcnt vmcnt(0) lgkmcnt(1)
	v_mul_f64 v[17:18], v[9:10], v[5:6]
	v_mul_f64 v[5:6], v[7:8], v[5:6]
	v_fma_f64 v[7:8], v[7:8], v[3:4], v[17:18]
	v_fma_f64 v[5:6], v[3:4], v[9:10], -v[5:6]
	v_mov_b32_e32 v3, v20
	v_mad_u64_u32 v[9:10], s[8:9], s1, v21, v[3:4]
	v_mov_b32_e32 v20, v9
	v_mul_f64 v[3:4], v[7:8], s[2:3]
	v_mul_f64 v[5:6], v[5:6], s[2:3]
	v_lshlrev_b64 v[7:8], 4, v[19:20]
	v_add_co_u32_e32 v7, vcc, v0, v7
	v_addc_co_u32_e32 v8, vcc, v1, v8, vcc
	global_store_dwordx4 v[7:8], v[3:6], off
	global_load_dwordx4 v[3:6], v185, s[6:7] offset:720
	s_waitcnt vmcnt(0) lgkmcnt(0)
	v_mul_f64 v[7:8], v[13:14], v[5:6]
	v_mul_f64 v[5:6], v[11:12], v[5:6]
	v_fma_f64 v[7:8], v[11:12], v[3:4], v[7:8]
	v_fma_f64 v[5:6], v[3:4], v[13:14], -v[5:6]
	v_mul_f64 v[3:4], v[7:8], s[2:3]
	v_mul_f64 v[5:6], v[5:6], s[2:3]
	v_mov_b32_e32 v7, 0xa0
	v_mad_u64_u32 v[15:16], s[8:9], s0, v7, v[15:16]
	s_mul_i32 s8, s1, 0xa0
	v_add_u32_e32 v16, s8, v16
	global_store_dwordx4 v[15:16], v[3:6], off
	global_load_dwordx4 v[3:6], v185, s[6:7] offset:800
	ds_read_b128 v[7:10], v2 offset:800
	ds_read_b128 v[11:14], v2 offset:880
	s_waitcnt vmcnt(0) lgkmcnt(1)
	v_mul_f64 v[17:18], v[9:10], v[5:6]
	v_mul_f64 v[5:6], v[7:8], v[5:6]
	v_fma_f64 v[7:8], v[7:8], v[3:4], v[17:18]
	v_fma_f64 v[5:6], v[3:4], v[9:10], -v[5:6]
	v_mul_f64 v[3:4], v[7:8], s[2:3]
	v_mul_f64 v[5:6], v[5:6], s[2:3]
	v_mov_b32_e32 v8, s5
	v_add_co_u32_e32 v7, vcc, s4, v15
	v_addc_co_u32_e32 v8, vcc, v16, v8, vcc
	v_add_co_u32_e32 v15, vcc, s4, v7
	global_store_dwordx4 v[7:8], v[3:6], off
	global_load_dwordx4 v[3:6], v185, s[6:7] offset:880
	s_waitcnt vmcnt(0) lgkmcnt(0)
	v_mul_f64 v[9:10], v[13:14], v[5:6]
	v_mul_f64 v[5:6], v[11:12], v[5:6]
	v_fma_f64 v[9:10], v[11:12], v[3:4], v[9:10]
	v_fma_f64 v[5:6], v[3:4], v[13:14], -v[5:6]
	v_mul_f64 v[3:4], v[9:10], s[2:3]
	v_mul_f64 v[5:6], v[5:6], s[2:3]
	v_mov_b32_e32 v9, s5
	v_addc_co_u32_e32 v16, vcc, v8, v9, vcc
	global_store_dwordx4 v[15:16], v[3:6], off
	global_load_dwordx4 v[3:6], v185, s[6:7] offset:960
	ds_read_b128 v[7:10], v2 offset:960
	ds_read_b128 v[11:14], v2 offset:1040
	s_waitcnt vmcnt(0) lgkmcnt(1)
	v_mul_f64 v[17:18], v[9:10], v[5:6]
	v_mul_f64 v[5:6], v[7:8], v[5:6]
	v_fma_f64 v[7:8], v[7:8], v[3:4], v[17:18]
	v_fma_f64 v[5:6], v[3:4], v[9:10], -v[5:6]
	v_mul_f64 v[3:4], v[7:8], s[2:3]
	v_mul_f64 v[5:6], v[5:6], s[2:3]
	v_mov_b32_e32 v8, s5
	v_add_co_u32_e32 v7, vcc, s4, v15
	v_addc_co_u32_e32 v8, vcc, v16, v8, vcc
	v_add_co_u32_e32 v15, vcc, s4, v7
	global_store_dwordx4 v[7:8], v[3:6], off
	global_load_dwordx4 v[3:6], v185, s[6:7] offset:1040
	s_waitcnt vmcnt(0) lgkmcnt(0)
	v_mul_f64 v[9:10], v[13:14], v[5:6]
	v_mul_f64 v[5:6], v[11:12], v[5:6]
	v_fma_f64 v[9:10], v[11:12], v[3:4], v[9:10]
	v_fma_f64 v[5:6], v[3:4], v[13:14], -v[5:6]
	v_mul_f64 v[3:4], v[9:10], s[2:3]
	v_mul_f64 v[5:6], v[5:6], s[2:3]
	v_mov_b32_e32 v9, s5
	v_addc_co_u32_e32 v16, vcc, v8, v9, vcc
	global_store_dwordx4 v[15:16], v[3:6], off
	global_load_dwordx4 v[3:6], v185, s[6:7] offset:1120
	ds_read_b128 v[7:10], v2 offset:1120
	ds_read_b128 v[11:14], v2 offset:1200
	s_waitcnt vmcnt(0) lgkmcnt(1)
	v_mul_f64 v[17:18], v[9:10], v[5:6]
	v_mul_f64 v[5:6], v[7:8], v[5:6]
	v_fma_f64 v[7:8], v[7:8], v[3:4], v[17:18]
	v_fma_f64 v[5:6], v[3:4], v[9:10], -v[5:6]
	v_mul_f64 v[3:4], v[7:8], s[2:3]
	v_mul_f64 v[5:6], v[5:6], s[2:3]
	v_mov_b32_e32 v8, s5
	v_add_co_u32_e32 v7, vcc, s4, v15
	v_addc_co_u32_e32 v8, vcc, v16, v8, vcc
	global_store_dwordx4 v[7:8], v[3:6], off
	global_load_dwordx4 v[3:6], v185, s[6:7] offset:1200
	v_add_co_u32_e32 v7, vcc, s4, v7
	s_waitcnt vmcnt(0) lgkmcnt(0)
	v_mul_f64 v[9:10], v[13:14], v[5:6]
	v_mul_f64 v[5:6], v[11:12], v[5:6]
	v_fma_f64 v[9:10], v[11:12], v[3:4], v[9:10]
	v_fma_f64 v[5:6], v[3:4], v[13:14], -v[5:6]
	v_or_b32_e32 v13, 0x50, v255
	v_mul_f64 v[3:4], v[9:10], s[2:3]
	v_mul_f64 v[5:6], v[5:6], s[2:3]
	v_mov_b32_e32 v9, s5
	v_addc_co_u32_e32 v8, vcc, v8, v9, vcc
	global_store_dwordx4 v[7:8], v[3:6], off
	global_load_dwordx4 v[3:6], v185, s[6:7] offset:1280
	ds_read_b128 v[7:10], v2 offset:1280
	s_waitcnt vmcnt(0) lgkmcnt(0)
	v_mul_f64 v[11:12], v[9:10], v[5:6]
	v_mul_f64 v[5:6], v[7:8], v[5:6]
	v_fma_f64 v[7:8], v[7:8], v[3:4], v[11:12]
	v_fma_f64 v[4:5], v[3:4], v[9:10], -v[5:6]
	v_mad_u64_u32 v[9:10], s[4:5], s0, v13, 0
	v_mov_b32_e32 v2, v10
	v_mad_u64_u32 v[10:11], s[0:1], s1, v13, v[2:3]
	v_mul_f64 v[2:3], v[7:8], s[2:3]
	v_mul_f64 v[4:5], v[4:5], s[2:3]
	v_lshlrev_b64 v[6:7], 4, v[9:10]
	v_add_co_u32_e32 v0, vcc, v0, v6
	v_addc_co_u32_e32 v1, vcc, v1, v7, vcc
	global_store_dwordx4 v[0:1], v[2:5], off
.LBB0_15:
	s_endpgm
	.section	.rodata,"a",@progbits
	.p2align	6, 0x0
	.amdhsa_kernel bluestein_single_fwd_len85_dim1_dp_op_CI_CI
		.amdhsa_group_segment_fixed_size 20400
		.amdhsa_private_segment_fixed_size 148
		.amdhsa_kernarg_size 104
		.amdhsa_user_sgpr_count 6
		.amdhsa_user_sgpr_private_segment_buffer 1
		.amdhsa_user_sgpr_dispatch_ptr 0
		.amdhsa_user_sgpr_queue_ptr 0
		.amdhsa_user_sgpr_kernarg_segment_ptr 1
		.amdhsa_user_sgpr_dispatch_id 0
		.amdhsa_user_sgpr_flat_scratch_init 0
		.amdhsa_user_sgpr_private_segment_size 0
		.amdhsa_uses_dynamic_stack 0
		.amdhsa_system_sgpr_private_segment_wavefront_offset 1
		.amdhsa_system_sgpr_workgroup_id_x 1
		.amdhsa_system_sgpr_workgroup_id_y 0
		.amdhsa_system_sgpr_workgroup_id_z 0
		.amdhsa_system_sgpr_workgroup_info 0
		.amdhsa_system_vgpr_workitem_id 0
		.amdhsa_next_free_vgpr 256
		.amdhsa_next_free_sgpr 64
		.amdhsa_reserve_vcc 1
		.amdhsa_reserve_flat_scratch 0
		.amdhsa_float_round_mode_32 0
		.amdhsa_float_round_mode_16_64 0
		.amdhsa_float_denorm_mode_32 3
		.amdhsa_float_denorm_mode_16_64 3
		.amdhsa_dx10_clamp 1
		.amdhsa_ieee_mode 1
		.amdhsa_fp16_overflow 0
		.amdhsa_exception_fp_ieee_invalid_op 0
		.amdhsa_exception_fp_denorm_src 0
		.amdhsa_exception_fp_ieee_div_zero 0
		.amdhsa_exception_fp_ieee_overflow 0
		.amdhsa_exception_fp_ieee_underflow 0
		.amdhsa_exception_fp_ieee_inexact 0
		.amdhsa_exception_int_div_zero 0
	.end_amdhsa_kernel
	.text
.Lfunc_end0:
	.size	bluestein_single_fwd_len85_dim1_dp_op_CI_CI, .Lfunc_end0-bluestein_single_fwd_len85_dim1_dp_op_CI_CI
                                        ; -- End function
	.section	.AMDGPU.csdata,"",@progbits
; Kernel info:
; codeLenInByte = 19960
; NumSgprs: 68
; NumVgprs: 256
; ScratchSize: 148
; MemoryBound: 0
; FloatMode: 240
; IeeeMode: 1
; LDSByteSize: 20400 bytes/workgroup (compile time only)
; SGPRBlocks: 8
; VGPRBlocks: 63
; NumSGPRsForWavesPerEU: 68
; NumVGPRsForWavesPerEU: 256
; Occupancy: 1
; WaveLimiterHint : 1
; COMPUTE_PGM_RSRC2:SCRATCH_EN: 1
; COMPUTE_PGM_RSRC2:USER_SGPR: 6
; COMPUTE_PGM_RSRC2:TRAP_HANDLER: 0
; COMPUTE_PGM_RSRC2:TGID_X_EN: 1
; COMPUTE_PGM_RSRC2:TGID_Y_EN: 0
; COMPUTE_PGM_RSRC2:TGID_Z_EN: 0
; COMPUTE_PGM_RSRC2:TIDIG_COMP_CNT: 0
	.type	__hip_cuid_54bbb3a352e00a60,@object ; @__hip_cuid_54bbb3a352e00a60
	.section	.bss,"aw",@nobits
	.globl	__hip_cuid_54bbb3a352e00a60
__hip_cuid_54bbb3a352e00a60:
	.byte	0                               ; 0x0
	.size	__hip_cuid_54bbb3a352e00a60, 1

	.ident	"AMD clang version 19.0.0git (https://github.com/RadeonOpenCompute/llvm-project roc-6.4.0 25133 c7fe45cf4b819c5991fe208aaa96edf142730f1d)"
	.section	".note.GNU-stack","",@progbits
	.addrsig
	.addrsig_sym __hip_cuid_54bbb3a352e00a60
	.amdgpu_metadata
---
amdhsa.kernels:
  - .args:
      - .actual_access:  read_only
        .address_space:  global
        .offset:         0
        .size:           8
        .value_kind:     global_buffer
      - .actual_access:  read_only
        .address_space:  global
        .offset:         8
        .size:           8
        .value_kind:     global_buffer
      - .actual_access:  read_only
        .address_space:  global
        .offset:         16
        .size:           8
        .value_kind:     global_buffer
      - .actual_access:  read_only
        .address_space:  global
        .offset:         24
        .size:           8
        .value_kind:     global_buffer
      - .actual_access:  read_only
        .address_space:  global
        .offset:         32
        .size:           8
        .value_kind:     global_buffer
      - .offset:         40
        .size:           8
        .value_kind:     by_value
      - .address_space:  global
        .offset:         48
        .size:           8
        .value_kind:     global_buffer
      - .address_space:  global
        .offset:         56
        .size:           8
        .value_kind:     global_buffer
      - .address_space:  global
        .offset:         64
        .size:           8
        .value_kind:     global_buffer
      - .address_space:  global
        .offset:         72
        .size:           8
        .value_kind:     global_buffer
      - .offset:         80
        .size:           4
        .value_kind:     by_value
      - .address_space:  global
        .offset:         88
        .size:           8
        .value_kind:     global_buffer
      - .address_space:  global
        .offset:         96
        .size:           8
        .value_kind:     global_buffer
    .group_segment_fixed_size: 20400
    .kernarg_segment_align: 8
    .kernarg_segment_size: 104
    .language:       OpenCL C
    .language_version:
      - 2
      - 0
    .max_flat_workgroup_size: 255
    .name:           bluestein_single_fwd_len85_dim1_dp_op_CI_CI
    .private_segment_fixed_size: 148
    .sgpr_count:     68
    .sgpr_spill_count: 0
    .symbol:         bluestein_single_fwd_len85_dim1_dp_op_CI_CI.kd
    .uniform_work_group_size: 1
    .uses_dynamic_stack: false
    .vgpr_count:     256
    .vgpr_spill_count: 36
    .wavefront_size: 64
amdhsa.target:   amdgcn-amd-amdhsa--gfx906
amdhsa.version:
  - 1
  - 2
...

	.end_amdgpu_metadata
